;; amdgpu-corpus repo=ROCm/rocFFT kind=compiled arch=gfx950 opt=O3
	.text
	.amdgcn_target "amdgcn-amd-amdhsa--gfx950"
	.amdhsa_code_object_version 6
	.protected	fft_rtc_fwd_len273_factors_13_3_7_wgs_52_tpt_13_sp_ip_CI_sbrr_dirReg ; -- Begin function fft_rtc_fwd_len273_factors_13_3_7_wgs_52_tpt_13_sp_ip_CI_sbrr_dirReg
	.globl	fft_rtc_fwd_len273_factors_13_3_7_wgs_52_tpt_13_sp_ip_CI_sbrr_dirReg
	.p2align	8
	.type	fft_rtc_fwd_len273_factors_13_3_7_wgs_52_tpt_13_sp_ip_CI_sbrr_dirReg,@function
fft_rtc_fwd_len273_factors_13_3_7_wgs_52_tpt_13_sp_ip_CI_sbrr_dirReg: ; @fft_rtc_fwd_len273_factors_13_3_7_wgs_52_tpt_13_sp_ip_CI_sbrr_dirReg
; %bb.0:
	s_load_dwordx2 s[12:13], s[0:1], 0x18
	s_load_dwordx4 s[4:7], s[0:1], 0x0
	s_load_dwordx2 s[10:11], s[0:1], 0x50
	v_mul_u32_u24_e32 v1, 0x13b2, v0
	v_lshrrev_b32_e32 v1, 16, v1
	s_waitcnt lgkmcnt(0)
	s_load_dwordx2 s[8:9], s[12:13], 0x0
	v_lshl_add_u32 v6, s2, 2, v1
	v_mov_b32_e32 v4, 0
	v_cmp_lt_u64_e64 s[2:3], s[6:7], 2
	v_mov_b32_e32 v7, v4
	s_and_b64 vcc, exec, s[2:3]
	v_mov_b64_e32 v[2:3], 0
	s_cbranch_vccnz .LBB0_8
; %bb.1:
	s_load_dwordx2 s[2:3], s[0:1], 0x10
	s_add_u32 s14, s12, 8
	s_addc_u32 s15, s13, 0
	s_mov_b64 s[16:17], 1
	v_mov_b64_e32 v[2:3], 0
	s_waitcnt lgkmcnt(0)
	s_add_u32 s18, s2, 8
	s_addc_u32 s19, s3, 0
.LBB0_2:                                ; =>This Inner Loop Header: Depth=1
	s_load_dwordx2 s[20:21], s[18:19], 0x0
                                        ; implicit-def: $vgpr8_vgpr9
	s_waitcnt lgkmcnt(0)
	v_or_b32_e32 v5, s21, v7
	v_cmp_ne_u64_e32 vcc, 0, v[4:5]
	s_and_saveexec_b64 s[2:3], vcc
	s_xor_b64 s[22:23], exec, s[2:3]
	s_cbranch_execz .LBB0_4
; %bb.3:                                ;   in Loop: Header=BB0_2 Depth=1
	v_cvt_f32_u32_e32 v5, s20
	v_cvt_f32_u32_e32 v8, s21
	s_sub_u32 s2, 0, s20
	s_subb_u32 s3, 0, s21
	v_fmac_f32_e32 v5, 0x4f800000, v8
	v_rcp_f32_e32 v5, v5
	s_nop 0
	v_mul_f32_e32 v5, 0x5f7ffffc, v5
	v_mul_f32_e32 v8, 0x2f800000, v5
	v_trunc_f32_e32 v8, v8
	v_fmac_f32_e32 v5, 0xcf800000, v8
	v_cvt_u32_f32_e32 v12, v8
	v_cvt_u32_f32_e32 v5, v5
	v_mul_lo_u32 v8, s2, v12
	v_mul_hi_u32 v10, s2, v5
	v_mul_lo_u32 v9, s3, v5
	v_add_u32_e32 v10, v10, v8
	v_mul_lo_u32 v13, s2, v5
	v_add_u32_e32 v14, v10, v9
	v_mul_hi_u32 v8, v5, v13
	v_mul_hi_u32 v11, v5, v14
	v_mul_lo_u32 v10, v5, v14
	v_mov_b32_e32 v9, v4
	v_lshl_add_u64 v[8:9], v[8:9], 0, v[10:11]
	v_mul_hi_u32 v11, v12, v13
	v_mul_lo_u32 v13, v12, v13
	v_add_co_u32_e32 v8, vcc, v8, v13
	v_mul_hi_u32 v10, v12, v14
	s_nop 0
	v_addc_co_u32_e32 v8, vcc, v9, v11, vcc
	v_mov_b32_e32 v9, v4
	s_nop 0
	v_addc_co_u32_e32 v11, vcc, 0, v10, vcc
	v_mul_lo_u32 v10, v12, v14
	v_lshl_add_u64 v[8:9], v[8:9], 0, v[10:11]
	v_add_co_u32_e32 v5, vcc, v5, v8
	v_mul_lo_u32 v10, s2, v5
	s_nop 0
	v_addc_co_u32_e32 v12, vcc, v12, v9, vcc
	v_mul_lo_u32 v8, s2, v12
	v_mul_hi_u32 v9, s2, v5
	v_add_u32_e32 v8, v9, v8
	v_mul_lo_u32 v9, s3, v5
	v_add_u32_e32 v13, v8, v9
	v_mul_hi_u32 v15, v12, v10
	v_mul_lo_u32 v16, v12, v10
	v_mul_hi_u32 v9, v5, v13
	v_mul_lo_u32 v8, v5, v13
	v_mul_hi_u32 v10, v5, v10
	v_mov_b32_e32 v11, v4
	v_lshl_add_u64 v[8:9], v[10:11], 0, v[8:9]
	v_add_co_u32_e32 v8, vcc, v8, v16
	v_mul_hi_u32 v14, v12, v13
	s_nop 0
	v_addc_co_u32_e32 v8, vcc, v9, v15, vcc
	v_mul_lo_u32 v10, v12, v13
	s_nop 0
	v_addc_co_u32_e32 v11, vcc, 0, v14, vcc
	v_mov_b32_e32 v9, v4
	v_lshl_add_u64 v[8:9], v[8:9], 0, v[10:11]
	v_add_co_u32_e32 v5, vcc, v5, v8
	v_mul_hi_u32 v10, v6, v5
	s_nop 0
	v_addc_co_u32_e32 v12, vcc, v12, v9, vcc
	v_mad_u64_u32 v[8:9], s[2:3], v6, v12, 0
	v_mov_b32_e32 v11, v4
	v_lshl_add_u64 v[8:9], v[10:11], 0, v[8:9]
	v_mad_u64_u32 v[10:11], s[2:3], v7, v12, 0
	v_mad_u64_u32 v[12:13], s[2:3], v7, v5, 0
	v_add_co_u32_e32 v5, vcc, v8, v12
	s_nop 1
	v_addc_co_u32_e32 v8, vcc, v9, v13, vcc
	v_mov_b32_e32 v9, v4
	s_nop 0
	v_addc_co_u32_e32 v11, vcc, 0, v11, vcc
	v_lshl_add_u64 v[8:9], v[8:9], 0, v[10:11]
	v_mul_lo_u32 v5, s21, v8
	v_mul_lo_u32 v12, s20, v9
	v_mad_u64_u32 v[10:11], s[2:3], s20, v8, 0
	v_add3_u32 v5, v11, v12, v5
	v_sub_u32_e32 v11, v7, v5
	v_mov_b32_e32 v12, s21
	v_sub_co_u32_e32 v14, vcc, v6, v10
	s_nop 1
	v_subb_co_u32_e64 v10, s[2:3], v11, v12, vcc
	v_subrev_co_u32_e64 v11, s[2:3], s20, v14
	v_subb_co_u32_e32 v5, vcc, v7, v5, vcc
	s_nop 0
	v_subbrev_co_u32_e64 v10, s[2:3], 0, v10, s[2:3]
	v_cmp_le_u32_e64 s[2:3], s21, v10
	v_cmp_le_u32_e32 vcc, s21, v5
	s_nop 0
	v_cndmask_b32_e64 v12, 0, -1, s[2:3]
	v_cmp_le_u32_e64 s[2:3], s20, v11
	s_nop 1
	v_cndmask_b32_e64 v11, 0, -1, s[2:3]
	v_cmp_eq_u32_e64 s[2:3], s21, v10
	s_nop 1
	v_cndmask_b32_e64 v15, v12, v11, s[2:3]
	v_lshl_add_u64 v[10:11], v[8:9], 0, 2
	v_lshl_add_u64 v[12:13], v[8:9], 0, 1
	v_cmp_ne_u32_e64 s[2:3], 0, v15
	s_nop 1
	v_cndmask_b32_e64 v11, v13, v11, s[2:3]
	v_cndmask_b32_e64 v13, 0, -1, vcc
	v_cmp_le_u32_e32 vcc, s20, v14
	s_nop 1
	v_cndmask_b32_e64 v14, 0, -1, vcc
	v_cmp_eq_u32_e32 vcc, s21, v5
	s_nop 1
	v_cndmask_b32_e32 v5, v13, v14, vcc
	v_cmp_ne_u32_e32 vcc, 0, v5
	v_cndmask_b32_e64 v5, v12, v10, s[2:3]
	s_nop 0
	v_cndmask_b32_e32 v9, v9, v11, vcc
	v_cndmask_b32_e32 v8, v8, v5, vcc
.LBB0_4:                                ;   in Loop: Header=BB0_2 Depth=1
	s_andn2_saveexec_b64 s[2:3], s[22:23]
	s_cbranch_execz .LBB0_6
; %bb.5:                                ;   in Loop: Header=BB0_2 Depth=1
	v_cvt_f32_u32_e32 v5, s20
	s_sub_i32 s22, 0, s20
	v_rcp_iflag_f32_e32 v5, v5
	s_nop 0
	v_mul_f32_e32 v5, 0x4f7ffffe, v5
	v_cvt_u32_f32_e32 v5, v5
	v_mul_lo_u32 v8, s22, v5
	v_mul_hi_u32 v8, v5, v8
	v_add_u32_e32 v5, v5, v8
	v_mul_hi_u32 v5, v6, v5
	v_mul_lo_u32 v8, v5, s20
	v_sub_u32_e32 v8, v6, v8
	v_add_u32_e32 v9, 1, v5
	v_subrev_u32_e32 v10, s20, v8
	v_cmp_le_u32_e32 vcc, s20, v8
	s_nop 1
	v_cndmask_b32_e32 v8, v8, v10, vcc
	v_cndmask_b32_e32 v5, v5, v9, vcc
	v_add_u32_e32 v9, 1, v5
	v_cmp_le_u32_e32 vcc, s20, v8
	s_nop 1
	v_cndmask_b32_e32 v8, v5, v9, vcc
	v_mov_b32_e32 v9, v4
.LBB0_6:                                ;   in Loop: Header=BB0_2 Depth=1
	s_or_b64 exec, exec, s[2:3]
	v_mad_u64_u32 v[10:11], s[2:3], v8, s20, 0
	s_load_dwordx2 s[2:3], s[14:15], 0x0
	v_mul_lo_u32 v5, v9, s20
	v_mul_lo_u32 v12, v8, s21
	v_add3_u32 v5, v11, v12, v5
	v_sub_co_u32_e32 v6, vcc, v6, v10
	s_add_u32 s16, s16, 1
	s_nop 0
	v_subb_co_u32_e32 v5, vcc, v7, v5, vcc
	s_addc_u32 s17, s17, 0
	s_waitcnt lgkmcnt(0)
	v_mul_lo_u32 v5, s2, v5
	v_mul_lo_u32 v7, s3, v6
	v_mad_u64_u32 v[2:3], s[2:3], s2, v6, v[2:3]
	s_add_u32 s14, s14, 8
	v_add3_u32 v3, v7, v3, v5
	s_addc_u32 s15, s15, 0
	v_mov_b64_e32 v[6:7], s[6:7]
	s_add_u32 s18, s18, 8
	v_cmp_ge_u64_e32 vcc, s[16:17], v[6:7]
	s_addc_u32 s19, s19, 0
	s_cbranch_vccnz .LBB0_9
; %bb.7:                                ;   in Loop: Header=BB0_2 Depth=1
	v_mov_b64_e32 v[6:7], v[8:9]
	s_branch .LBB0_2
.LBB0_8:
	v_mov_b64_e32 v[8:9], v[6:7]
.LBB0_9:
	s_lshl_b64 s[2:3], s[6:7], 3
	s_add_u32 s2, s12, s2
	s_addc_u32 s3, s13, s3
	s_load_dwordx2 s[6:7], s[2:3], 0x0
	s_load_dwordx2 s[12:13], s[0:1], 0x20
	s_mov_b32 s2, 0x13b13b14
	v_and_b32_e32 v1, 3, v1
                                        ; implicit-def: $vgpr135
	s_waitcnt lgkmcnt(0)
	v_mul_lo_u32 v4, s6, v9
	v_mul_lo_u32 v5, s7, v8
	v_mad_u64_u32 v[2:3], s[0:1], s6, v8, v[2:3]
	v_add3_u32 v3, v5, v3, v4
	v_mul_hi_u32 v4, v0, s2
	v_mul_u32_u24_e32 v4, 13, v4
	v_sub_u32_e32 v128, v0, v4
	v_cmp_gt_u64_e32 vcc, s[12:13], v[8:9]
	v_cmp_le_u64_e64 s[0:1], s[12:13], v[8:9]
	v_add_u32_e32 v130, 13, v128
	s_and_saveexec_b64 s[2:3], s[0:1]
	s_xor_b64 s[0:1], exec, s[2:3]
; %bb.10:
	v_add_u32_e32 v135, 13, v128
; %bb.11:
	s_or_saveexec_b64 s[0:1], s[0:1]
	v_mul_u32_u24_e32 v0, 0x111, v1
	v_lshl_add_u64 v[48:49], v[2:3], 3, s[10:11]
	v_lshlrev_b32_e32 v136, 3, v0
	v_lshlrev_b32_e32 v0, 3, v128
	v_add_u32_e32 v132, 26, v128
	v_add_u32_e32 v131, 39, v128
	;; [unrolled: 1-line block ×3, first 2 shown]
	s_xor_b64 exec, exec, s[0:1]
	s_cbranch_execz .LBB0_13
; %bb.12:
	v_mad_u64_u32 v[2:3], s[2:3], s8, v128, 0
	v_mov_b32_e32 v4, v3
	v_mad_u64_u32 v[4:5], s[2:3], s9, v128, v[4:5]
	v_mov_b32_e32 v3, v4
	;; [unrolled: 2-line block ×7, first 2 shown]
	v_mad_u64_u32 v[10:11], s[2:3], s9, v131, v[10:11]
	v_lshl_add_u64 v[2:3], v[2:3], 3, v[48:49]
	v_mov_b32_e32 v9, v10
	v_lshl_add_u64 v[4:5], v[4:5], 3, v[48:49]
	v_lshl_add_u64 v[6:7], v[6:7], 3, v[48:49]
	;; [unrolled: 1-line block ×3, first 2 shown]
	global_load_dwordx2 v[10:11], v[2:3], off
	global_load_dwordx2 v[12:13], v[4:5], off
	global_load_dwordx2 v[14:15], v[6:7], off
	global_load_dwordx2 v[16:17], v[8:9], off
	v_mad_u64_u32 v[2:3], s[2:3], s8, v129, 0
	v_mov_b32_e32 v4, v3
	v_mad_u64_u32 v[4:5], s[2:3], s9, v129, v[4:5]
	v_add_u32_e32 v1, 0x41, v128
	v_mov_b32_e32 v3, v4
	v_mad_u64_u32 v[4:5], s[2:3], s8, v1, 0
	v_mov_b32_e32 v6, v5
	v_mad_u64_u32 v[6:7], s[2:3], s9, v1, v[6:7]
	v_add_u32_e32 v1, 0x4e, v128
	v_mov_b32_e32 v5, v6
	;; [unrolled: 5-line block ×3, first 2 shown]
	v_mad_u64_u32 v[8:9], s[2:3], s8, v1, 0
	v_mov_b32_e32 v18, v9
	v_mad_u64_u32 v[18:19], s[2:3], s9, v1, v[18:19]
	v_lshl_add_u64 v[2:3], v[2:3], 3, v[48:49]
	v_mov_b32_e32 v9, v18
	v_add_u32_e32 v1, 0x68, v128
	v_lshl_add_u64 v[4:5], v[4:5], 3, v[48:49]
	v_lshl_add_u64 v[6:7], v[6:7], 3, v[48:49]
	;; [unrolled: 1-line block ×3, first 2 shown]
	global_load_dwordx2 v[18:19], v[2:3], off
	global_load_dwordx2 v[20:21], v[4:5], off
	;; [unrolled: 1-line block ×4, first 2 shown]
	v_mad_u64_u32 v[2:3], s[2:3], s8, v1, 0
	v_mov_b32_e32 v4, v3
	v_mad_u64_u32 v[4:5], s[2:3], s9, v1, v[4:5]
	v_add_u32_e32 v1, 0x75, v128
	v_mov_b32_e32 v3, v4
	v_mad_u64_u32 v[4:5], s[2:3], s8, v1, 0
	v_mov_b32_e32 v6, v5
	v_mad_u64_u32 v[6:7], s[2:3], s9, v1, v[6:7]
	v_add_u32_e32 v1, 0x82, v128
	v_mov_b32_e32 v5, v6
	;; [unrolled: 5-line block ×3, first 2 shown]
	v_mad_u64_u32 v[8:9], s[2:3], s8, v1, 0
	v_mov_b32_e32 v26, v9
	v_mad_u64_u32 v[26:27], s[2:3], s9, v1, v[26:27]
	v_lshl_add_u64 v[2:3], v[2:3], 3, v[48:49]
	v_mov_b32_e32 v9, v26
	v_add_u32_e32 v1, 0x9c, v128
	v_lshl_add_u64 v[4:5], v[4:5], 3, v[48:49]
	v_lshl_add_u64 v[6:7], v[6:7], 3, v[48:49]
	v_lshl_add_u64 v[8:9], v[8:9], 3, v[48:49]
	global_load_dwordx2 v[26:27], v[2:3], off
	global_load_dwordx2 v[28:29], v[4:5], off
	;; [unrolled: 1-line block ×4, first 2 shown]
	v_mad_u64_u32 v[2:3], s[2:3], s8, v1, 0
	v_mov_b32_e32 v4, v3
	v_mad_u64_u32 v[4:5], s[2:3], s9, v1, v[4:5]
	v_add_u32_e32 v1, 0xa9, v128
	v_mov_b32_e32 v3, v4
	v_mad_u64_u32 v[4:5], s[2:3], s8, v1, 0
	v_mov_b32_e32 v6, v5
	v_mad_u64_u32 v[6:7], s[2:3], s9, v1, v[6:7]
	v_add_u32_e32 v1, 0xb6, v128
	v_mov_b32_e32 v5, v6
	;; [unrolled: 5-line block ×3, first 2 shown]
	v_mad_u64_u32 v[8:9], s[2:3], s8, v1, 0
	v_mov_b32_e32 v34, v9
	v_mad_u64_u32 v[34:35], s[2:3], s9, v1, v[34:35]
	v_lshl_add_u64 v[2:3], v[2:3], 3, v[48:49]
	v_mov_b32_e32 v9, v34
	v_or_b32_e32 v1, 0xd0, v128
	v_lshl_add_u64 v[4:5], v[4:5], 3, v[48:49]
	v_lshl_add_u64 v[6:7], v[6:7], 3, v[48:49]
	v_lshl_add_u64 v[8:9], v[8:9], 3, v[48:49]
	global_load_dwordx2 v[34:35], v[2:3], off
	global_load_dwordx2 v[36:37], v[4:5], off
	;; [unrolled: 1-line block ×4, first 2 shown]
	v_mad_u64_u32 v[2:3], s[2:3], s8, v1, 0
	v_mov_b32_e32 v4, v3
	v_mad_u64_u32 v[4:5], s[2:3], s9, v1, v[4:5]
	v_add_u32_e32 v1, 0xdd, v128
	v_mov_b32_e32 v3, v4
	v_mad_u64_u32 v[4:5], s[2:3], s8, v1, 0
	v_mov_b32_e32 v6, v5
	v_mad_u64_u32 v[6:7], s[2:3], s9, v1, v[6:7]
	v_add_u32_e32 v1, 0xea, v128
	v_mov_b32_e32 v5, v6
	;; [unrolled: 5-line block ×3, first 2 shown]
	v_mad_u64_u32 v[8:9], s[2:3], s8, v1, 0
	v_mov_b32_e32 v42, v9
	v_mad_u64_u32 v[42:43], s[2:3], s9, v1, v[42:43]
	v_lshl_add_u64 v[2:3], v[2:3], 3, v[48:49]
	v_mov_b32_e32 v9, v42
	v_lshl_add_u64 v[4:5], v[4:5], 3, v[48:49]
	v_lshl_add_u64 v[6:7], v[6:7], 3, v[48:49]
	v_lshl_add_u64 v[8:9], v[8:9], 3, v[48:49]
	global_load_dwordx2 v[42:43], v[2:3], off
	global_load_dwordx2 v[44:45], v[4:5], off
	;; [unrolled: 1-line block ×4, first 2 shown]
	v_add_u32_e32 v1, 0x104, v128
	v_mad_u64_u32 v[2:3], s[2:3], s8, v1, 0
	v_mov_b32_e32 v4, v3
	v_mad_u64_u32 v[4:5], s[2:3], s9, v1, v[4:5]
	v_mov_b32_e32 v3, v4
	v_lshl_add_u64 v[2:3], v[2:3], 3, v[48:49]
	global_load_dwordx2 v[2:3], v[2:3], off
	v_add3_u32 v1, 0, v136, v0
	v_mov_b32_e32 v135, v130
	s_waitcnt vmcnt(19)
	ds_write2_b64 v1, v[10:11], v[12:13] offset1:13
	s_waitcnt vmcnt(17)
	ds_write2_b64 v1, v[14:15], v[16:17] offset0:26 offset1:39
	s_waitcnt vmcnt(15)
	ds_write2_b64 v1, v[18:19], v[20:21] offset0:52 offset1:65
	;; [unrolled: 2-line block ×9, first 2 shown]
	s_waitcnt vmcnt(0)
	ds_write_b64 v1, v[2:3] offset:2080
.LBB0_13:
	s_or_b64 exec, exec, s[0:1]
	v_add_u32_e32 v106, 0, v136
	v_add_u32_e32 v133, v106, v0
	v_add_u32_e32 v0, 0, v0
	v_add_u32_e32 v134, v0, v136
	s_waitcnt lgkmcnt(0)
	; wave barrier
	s_waitcnt lgkmcnt(0)
	ds_read2_b64 v[8:11], v134 offset0:34 offset1:42
	ds_read2_b64 v[4:7], v134 offset0:223 offset1:231
	;; [unrolled: 1-line block ×6, first 2 shown]
	s_mov_b32 s2, 0xbeedf032
	s_mov_b32 s3, 0x3f62ad3f
	ds_read_b64 v[52:53], v133
	ds_read_b64 v[58:59], v134 offset:2120
	s_waitcnt lgkmcnt(2)
	v_pk_add_f32 v[90:91], v[18:19], v[2:3]
	v_pk_add_f32 v[28:29], v[2:3], v[18:19] neg_lo:[0,1] neg_hi:[0,1]
	s_mov_b32 s6, 0xbf52af12
	v_pk_add_f32 v[80:81], v[6:7], v[10:11]
	v_pk_add_f32 v[24:25], v[10:11], v[6:7] neg_lo:[0,1] neg_hi:[0,1]
	v_mov_b32_e32 v51, v91
	v_mov_b32_e32 v91, v28
	s_mov_b32 s38, s3
	s_mov_b32 s39, s2
	;; [unrolled: 1-line block ×3, first 2 shown]
	v_mov_b32_e32 v50, v29
	v_pk_mul_f32 v[54:55], v[90:91], s[38:39]
	v_mov_b32_e32 v63, v81
	v_mov_b32_e32 v81, v24
	s_mov_b32 s28, s7
	s_mov_b32 s29, s6
	v_pk_fma_f32 v[28:29], v[50:51], s[2:3], v[54:55] neg_lo:[1,0,0] neg_hi:[1,0,0]
	v_pk_fma_f32 v[56:57], v[50:51], s[2:3], v[54:55]
	v_mov_b32_e32 v62, v25
	v_pk_mul_f32 v[66:67], v[80:81], s[28:29]
	v_mov_b32_e32 v29, v57
	v_pk_fma_f32 v[24:25], v[62:63], s[6:7], v[66:67] neg_lo:[1,0,0] neg_hi:[1,0,0]
	v_pk_fma_f32 v[64:65], v[62:63], s[6:7], v[66:67]
	v_pk_add_f32 v[60:61], v[14:15], v[22:23]
	v_pk_add_f32 v[26:27], v[22:23], v[14:15] neg_lo:[0,1] neg_hi:[0,1]
	s_waitcnt lgkmcnt(1)
	v_pk_add_f32 v[28:29], v[52:53], v[28:29]
	v_mov_b32_e32 v25, v65
	s_mov_b32 s10, 0xbf7e222b
	v_pk_add_f32 v[32:33], v[24:25], v[28:29]
	v_mov_b32_e32 v68, v27
	v_mov_b32_e32 v69, v61
	s_mov_b32 s11, 0x3df6dbef
	v_mov_b32_e32 v61, v26
	ds_read2_b64 v[28:31], v134 offset0:76 offset1:84
	ds_read2_b64 v[24:27], v134 offset0:181 offset1:189
	s_mov_b32 s36, s11
	s_mov_b32 s37, s10
	v_pk_mul_f32 v[70:71], v[60:61], s[36:37]
	s_mov_b32 s12, 0xbf6f5d39
	v_pk_fma_f32 v[34:35], v[68:69], s[10:11], v[70:71] neg_lo:[1,0,0] neg_hi:[1,0,0]
	v_pk_fma_f32 v[72:73], v[68:69], s[10:11], v[70:71]
	s_waitcnt lgkmcnt(0)
	v_pk_add_f32 v[96:97], v[26:27], v[30:31]
	v_mov_b32_e32 v35, v73
	v_pk_add_f32 v[40:41], v[34:35], v[32:33]
	v_pk_add_f32 v[32:33], v[30:31], v[26:27] neg_lo:[0,1] neg_hi:[0,1]
	v_mov_b32_e32 v75, v97
	v_mov_b32_e32 v74, v33
	;; [unrolled: 1-line block ×3, first 2 shown]
	s_mov_b32 s13, 0xbeb58ec6
	ds_read2_b64 v[36:39], v134 offset0:97 offset1:105
	ds_read2_b64 v[32:35], v134 offset0:160 offset1:168
	s_mov_b32 s24, s13
	s_mov_b32 s25, s12
	v_pk_mul_f32 v[76:77], v[96:97], s[24:25]
	s_mov_b32 s14, 0xbf29c268
	v_pk_fma_f32 v[42:43], v[74:75], s[12:13], v[76:77] neg_lo:[1,0,0] neg_hi:[1,0,0]
	v_pk_fma_f32 v[78:79], v[74:75], s[12:13], v[76:77]
	s_waitcnt lgkmcnt(0)
	v_pk_add_f32 v[98:99], v[34:35], v[38:39]
	v_mov_b32_e32 v43, v79
	v_pk_add_f32 v[88:89], v[42:43], v[40:41]
	v_pk_add_f32 v[40:41], v[38:39], v[34:35] neg_lo:[0,1] neg_hi:[0,1]
	v_pk_add_f32 v[2:3], v[52:53], v[2:3]
	v_mov_b32_e32 v82, v41
	v_mov_b32_e32 v83, v99
	;; [unrolled: 1-line block ×3, first 2 shown]
	s_mov_b32 s15, 0xbf3f9e67
	ds_read2_b64 v[40:43], v134 offset0:118 offset1:126
	ds_read2_b64 v[44:47], v134 offset0:139 offset1:147
	v_pk_add_f32 v[2:3], v[2:3], v[10:11]
	s_mov_b32 s26, s15
	s_mov_b32 s27, s14
	v_pk_add_f32 v[2:3], v[2:3], v[22:23]
	v_pk_mul_f32 v[84:85], v[98:99], s[26:27]
	v_pk_add_f32 v[2:3], v[2:3], v[30:31]
	v_pk_fma_f32 v[92:93], v[82:83], s[14:15], v[84:85] neg_lo:[1,0,0] neg_hi:[1,0,0]
	v_pk_fma_f32 v[86:87], v[82:83], s[14:15], v[84:85]
	v_pk_add_f32 v[2:3], v[2:3], v[38:39]
	v_mov_b32_e32 v93, v87
	s_mov_b32 s16, 0xbe750f2a
	s_waitcnt lgkmcnt(1)
	v_pk_add_f32 v[2:3], v[2:3], v[42:43]
	v_pk_add_f32 v[102:103], v[92:93], v[88:89]
	s_waitcnt lgkmcnt(0)
	v_pk_add_f32 v[100:101], v[46:47], v[42:43]
	v_pk_add_f32 v[92:93], v[42:43], v[46:47] neg_lo:[0,1] neg_hi:[0,1]
	s_mov_b32 s17, 0xbf788fa5
	v_pk_add_f32 v[2:3], v[2:3], v[46:47]
	v_mov_b32_e32 v89, v101
	v_mov_b32_e32 v101, v92
	s_mov_b32 s30, s17
	s_mov_b32 s31, s16
	v_pk_add_f32 v[2:3], v[2:3], v[34:35]
	v_mov_b32_e32 v88, v93
	v_pk_mul_f32 v[94:95], v[100:101], s[30:31]
	v_pk_add_f32 v[2:3], v[2:3], v[26:27]
	v_pk_fma_f32 v[104:105], v[88:89], s[16:17], v[94:95] neg_lo:[1,0,0] neg_hi:[1,0,0]
	v_pk_fma_f32 v[92:93], v[88:89], s[16:17], v[94:95]
	v_pk_add_f32 v[2:3], v[2:3], v[14:15]
	v_mov_b32_e32 v105, v93
	s_movk_i32 s0, 0x68
	v_pk_add_f32 v[2:3], v[2:3], v[6:7]
	v_pk_add_f32 v[102:103], v[104:105], v[102:103]
	v_mad_u32_u24 v137, v128, s0, v106
	v_pk_add_f32 v[2:3], v[2:3], v[18:19]
	v_pk_mul_f32 v[10:11], v[90:91], s[28:29]
	s_waitcnt lgkmcnt(0)
	; wave barrier
	ds_write2_b64 v137, v[2:3], v[102:103] offset1:1
	v_pk_fma_f32 v[18:19], v[50:51], s[6:7], v[10:11] neg_lo:[1,0,0] neg_hi:[1,0,0]
	v_pk_fma_f32 v[2:3], v[50:51], s[6:7], v[10:11]
	v_pk_mul_f32 v[14:15], v[80:81], s[24:25]
	v_mov_b32_e32 v19, v3
	v_pk_fma_f32 v[22:23], v[62:63], s[12:13], v[14:15] neg_lo:[1,0,0] neg_hi:[1,0,0]
	v_pk_fma_f32 v[6:7], v[62:63], s[12:13], v[14:15]
	v_pk_add_f32 v[18:19], v[52:53], v[18:19]
	v_mov_b32_e32 v23, v7
	v_pk_mul_f32 v[26:27], v[60:61], s[30:31]
	s_mov_b32 s18, 0x3f29c268
	v_pk_add_f32 v[22:23], v[22:23], v[18:19]
	v_pk_fma_f32 v[30:31], v[68:69], s[16:17], v[26:27] neg_lo:[1,0,0] neg_hi:[1,0,0]
	v_pk_fma_f32 v[18:19], v[68:69], s[16:17], v[26:27]
	s_mov_b32 s48, s15
	s_mov_b32 s49, s18
	v_mov_b32_e32 v31, v19
	s_mov_b32 s19, s15
	v_pk_mul_f32 v[34:35], v[96:97], s[48:49]
	v_pk_add_f32 v[30:31], v[30:31], v[22:23]
	v_pk_fma_f32 v[38:39], v[74:75], s[18:19], v[34:35] neg_lo:[1,0,0] neg_hi:[1,0,0]
	v_pk_fma_f32 v[22:23], v[74:75], s[18:19], v[34:35]
	s_mov_b32 s20, 0x3f7e222b
	v_mov_b32_e32 v39, v23
	s_mov_b32 s40, s11
	s_mov_b32 s41, s20
	v_pk_add_f32 v[42:43], v[38:39], v[30:31]
	s_mov_b32 s21, s11
	v_pk_mul_f32 v[38:39], v[98:99], s[40:41]
	s_mov_b32 s22, 0x3eedf032
	v_pk_fma_f32 v[46:47], v[82:83], s[20:21], v[38:39] neg_lo:[1,0,0] neg_hi:[1,0,0]
	v_pk_fma_f32 v[30:31], v[82:83], s[20:21], v[38:39]
	s_mov_b32 s42, s3
	v_mov_b32_e32 v47, v31
	s_mov_b32 s43, s22
	v_pk_add_f32 v[102:103], v[46:47], v[42:43]
	s_mov_b32 s23, s3
	v_pk_mul_f32 v[46:47], v[100:101], s[42:43]
	v_pk_mul_f32 v[106:107], v[90:91], s[36:37]
	v_pk_fma_f32 v[104:105], v[88:89], s[22:23], v[46:47] neg_lo:[1,0,0] neg_hi:[1,0,0]
	v_pk_fma_f32 v[42:43], v[88:89], s[22:23], v[46:47]
	v_pk_fma_f32 v[110:111], v[50:51], s[10:11], v[106:107] neg_lo:[1,0,0] neg_hi:[1,0,0]
	v_mov_b32_e32 v105, v43
	v_pk_add_f32 v[126:127], v[104:105], v[102:103]
	v_pk_fma_f32 v[102:103], v[50:51], s[10:11], v[106:107]
	v_pk_mul_f32 v[108:109], v[80:81], s[30:31]
	s_mov_b32 s34, 0x3f6f5d39
	v_mov_b32_e32 v111, v103
	v_pk_fma_f32 v[112:113], v[62:63], s[16:17], v[108:109] neg_lo:[1,0,0] neg_hi:[1,0,0]
	v_pk_fma_f32 v[104:105], v[62:63], s[16:17], v[108:109]
	s_mov_b32 s54, s13
	s_mov_b32 s55, s34
	v_mov_b32_e32 v113, v105
	v_pk_add_f32 v[110:111], v[52:53], v[110:111]
	s_mov_b32 s35, s13
	v_pk_mul_f32 v[116:117], v[60:61], s[54:55]
	v_pk_add_f32 v[112:113], v[112:113], v[110:111]
	v_pk_fma_f32 v[114:115], v[68:69], s[34:35], v[116:117] neg_lo:[1,0,0] neg_hi:[1,0,0]
	v_pk_fma_f32 v[110:111], v[68:69], s[34:35], v[116:117]
	v_pk_mul_f32 v[120:121], v[96:97], s[42:43]
	v_mov_b32_e32 v115, v111
	v_pk_add_f32 v[114:115], v[114:115], v[112:113]
	v_pk_fma_f32 v[118:119], v[74:75], s[22:23], v[120:121] neg_lo:[1,0,0] neg_hi:[1,0,0]
	v_pk_fma_f32 v[112:113], v[74:75], s[22:23], v[120:121]
	v_pk_mul_f32 v[122:123], v[98:99], s[28:29]
	v_mov_b32_e32 v119, v113
	v_pk_add_f32 v[118:119], v[118:119], v[114:115]
	v_pk_fma_f32 v[124:125], v[82:83], s[6:7], v[122:123] neg_lo:[1,0,0] neg_hi:[1,0,0]
	v_pk_fma_f32 v[114:115], v[82:83], s[6:7], v[122:123]
	v_pk_mul_f32 v[142:143], v[80:81], s[48:49]
	v_mov_b32_e32 v125, v115
	v_pk_add_f32 v[138:139], v[124:125], v[118:119]
	v_pk_mul_f32 v[124:125], v[100:101], s[26:27]
	v_pk_fma_f32 v[144:145], v[62:63], s[18:19], v[142:143] neg_lo:[1,0,0] neg_hi:[1,0,0]
	v_pk_fma_f32 v[140:141], v[88:89], s[14:15], v[124:125] neg_lo:[1,0,0] neg_hi:[1,0,0]
	v_pk_fma_f32 v[118:119], v[88:89], s[14:15], v[124:125]
	v_pk_fma_f32 v[146:147], v[62:63], s[18:19], v[142:143]
	v_mov_b32_e32 v141, v119
	v_pk_add_f32 v[138:139], v[140:141], v[138:139]
	ds_write2_b64 v137, v[126:127], v[138:139] offset0:2 offset1:3
	v_pk_mul_f32 v[138:139], v[90:91], s[24:25]
	v_mov_b32_e32 v145, v147
	v_pk_fma_f32 v[140:141], v[50:51], s[12:13], v[138:139] neg_lo:[1,0,0] neg_hi:[1,0,0]
	v_pk_fma_f32 v[126:127], v[50:51], s[12:13], v[138:139]
	s_mov_b32 s44, 0x3e750f2a
	v_mov_b32_e32 v141, v127
	v_pk_add_f32 v[140:141], v[52:53], v[140:141]
	s_mov_b32 s52, s17
	v_pk_add_f32 v[140:141], v[144:145], v[140:141]
	v_pk_mul_f32 v[144:145], v[60:61], s[42:43]
	s_mov_b32 s53, s44
	v_pk_fma_f32 v[148:149], v[68:69], s[22:23], v[144:145] neg_lo:[1,0,0] neg_hi:[1,0,0]
	v_pk_fma_f32 v[150:151], v[68:69], s[22:23], v[144:145]
	s_mov_b32 s45, s17
	v_mov_b32_e32 v149, v151
	v_pk_add_f32 v[140:141], v[148:149], v[140:141]
	v_pk_mul_f32 v[148:149], v[96:97], s[36:37]
	s_mov_b32 s46, 0x3f52af12
	v_pk_fma_f32 v[152:153], v[74:75], s[10:11], v[148:149] neg_lo:[1,0,0] neg_hi:[1,0,0]
	v_pk_fma_f32 v[154:155], v[74:75], s[10:11], v[148:149]
	s_mov_b32 s50, s7
	v_mov_b32_e32 v153, v155
	;; [unrolled: 7-line block ×3, first 2 shown]
	v_pk_add_f32 v[140:141], v[156:157], v[140:141]
	v_pk_mul_f32 v[156:157], v[100:101], s[50:51]
	v_pk_mul_f32 v[168:169], v[80:81], s[40:41]
	v_pk_fma_f32 v[160:161], v[88:89], s[46:47], v[156:157] neg_lo:[1,0,0] neg_hi:[1,0,0]
	v_pk_fma_f32 v[162:163], v[88:89], s[46:47], v[156:157]
	v_pk_fma_f32 v[170:171], v[62:63], s[20:21], v[168:169] neg_lo:[1,0,0] neg_hi:[1,0,0]
	v_mov_b32_e32 v161, v163
	v_pk_add_f32 v[140:141], v[160:161], v[140:141]
	v_pk_mul_f32 v[160:161], v[90:91], s[26:27]
	v_pk_fma_f32 v[172:173], v[62:63], s[20:21], v[168:169]
	v_pk_fma_f32 v[164:165], v[50:51], s[14:15], v[160:161] neg_lo:[1,0,0] neg_hi:[1,0,0]
	v_pk_fma_f32 v[166:167], v[50:51], s[14:15], v[160:161]
	v_mov_b32_e32 v171, v173
	v_mov_b32_e32 v165, v167
	v_pk_add_f32 v[164:165], v[52:53], v[164:165]
	v_pk_mul_f32 v[90:91], v[90:91], s[30:31]
	v_pk_add_f32 v[164:165], v[170:171], v[164:165]
	v_pk_mul_f32 v[170:171], v[60:61], s[28:29]
	v_pk_mul_f32 v[80:81], v[80:81], s[42:43]
	v_pk_fma_f32 v[174:175], v[68:69], s[6:7], v[170:171] neg_lo:[1,0,0] neg_hi:[1,0,0]
	v_pk_fma_f32 v[176:177], v[68:69], s[6:7], v[170:171]
	v_pk_fma_f32 v[190:191], v[62:63], s[22:23], v[80:81]
	v_mov_b32_e32 v175, v177
	v_pk_add_f32 v[164:165], v[174:175], v[164:165]
	v_pk_mul_f32 v[174:175], v[96:97], s[52:53]
	v_pk_mul_f32 v[60:61], v[60:61], s[26:27]
	v_pk_fma_f32 v[178:179], v[74:75], s[44:45], v[174:175] neg_lo:[1,0,0] neg_hi:[1,0,0]
	v_pk_fma_f32 v[180:181], v[74:75], s[44:45], v[174:175]
	v_pk_fma_f32 v[192:193], v[68:69], s[14:15], v[60:61]
	v_mov_b32_e32 v179, v181
	;; [unrolled: 7-line block ×4, first 2 shown]
	v_pk_add_f32 v[164:165], v[186:187], v[164:165]
	ds_write2_b64 v137, v[140:141], v[164:165] offset0:4 offset1:5
	v_pk_fma_f32 v[140:141], v[50:51], s[16:17], v[90:91] neg_lo:[1,0,0] neg_hi:[1,0,0]
	v_pk_fma_f32 v[164:165], v[50:51], s[16:17], v[90:91]
	v_pk_fma_f32 v[186:187], v[62:63], s[22:23], v[80:81] neg_lo:[1,0,0] neg_hi:[1,0,0]
	v_mov_b32_e32 v141, v165
	v_mov_b32_e32 v187, v191
	v_pk_add_f32 v[140:141], v[52:53], v[140:141]
	v_pk_mul_f32 v[100:101], v[100:101], s[40:41]
	v_pk_add_f32 v[140:141], v[186:187], v[140:141]
	v_pk_fma_f32 v[186:187], v[68:69], s[14:15], v[60:61] neg_lo:[1,0,0] neg_hi:[1,0,0]
	v_pk_fma_f32 v[60:61], v[68:69], s[14:15], v[60:61] neg_lo:[0,0,1] neg_hi:[0,0,1]
	v_mov_b32_e32 v187, v193
	v_pk_add_f32 v[140:141], v[186:187], v[140:141]
	v_pk_fma_f32 v[186:187], v[74:75], s[46:47], v[96:97] neg_lo:[1,0,0] neg_hi:[1,0,0]
	v_mov_b32_e32 v193, v61
	v_mov_b32_e32 v187, v195
	v_pk_add_f32 v[140:141], v[186:187], v[140:141]
	v_pk_fma_f32 v[186:187], v[82:83], s[12:13], v[98:99] neg_lo:[1,0,0] neg_hi:[1,0,0]
	v_pk_fma_f32 v[60:61], v[74:75], s[46:47], v[96:97] neg_lo:[0,0,1] neg_hi:[0,0,1]
	v_mov_b32_e32 v187, v197
	v_pk_fma_f32 v[90:91], v[50:51], s[16:17], v[90:91] neg_lo:[0,0,1] neg_hi:[0,0,1]
	v_mov_b32_e32 v195, v61
	v_pk_fma_f32 v[60:61], v[82:83], s[12:13], v[98:99] neg_lo:[0,0,1] neg_hi:[0,0,1]
	v_pk_add_f32 v[140:141], v[186:187], v[140:141]
	v_pk_fma_f32 v[186:187], v[88:89], s[20:21], v[100:101] neg_lo:[1,0,0] neg_hi:[1,0,0]
	v_pk_fma_f32 v[198:199], v[88:89], s[20:21], v[100:101]
	v_mov_b32_e32 v165, v91
	v_pk_fma_f32 v[80:81], v[62:63], s[22:23], v[80:81] neg_lo:[0,0,1] neg_hi:[0,0,1]
	v_mov_b32_e32 v197, v61
	v_pk_fma_f32 v[60:61], v[88:89], s[20:21], v[100:101] neg_lo:[0,0,1] neg_hi:[0,0,1]
	v_mov_b32_e32 v187, v199
	v_mov_b32_e32 v191, v81
	;; [unrolled: 1-line block ×3, first 2 shown]
	v_pk_add_f32 v[60:61], v[52:53], v[164:165]
	v_pk_add_f32 v[140:141], v[186:187], v[140:141]
	;; [unrolled: 1-line block ×3, first 2 shown]
	v_pk_fma_f32 v[80:81], v[50:51], s[12:13], v[138:139] neg_lo:[0,0,1] neg_hi:[0,0,1]
	v_pk_add_f32 v[60:61], v[192:193], v[60:61]
	v_mov_b32_e32 v127, v81
	v_pk_add_f32 v[60:61], v[194:195], v[60:61]
	v_pk_fma_f32 v[80:81], v[62:63], s[18:19], v[142:143] neg_lo:[0,0,1] neg_hi:[0,0,1]
	v_pk_add_f32 v[60:61], v[196:197], v[60:61]
	v_mov_b32_e32 v147, v81
	v_pk_add_f32 v[60:61], v[198:199], v[60:61]
	ds_write2_b64 v137, v[140:141], v[60:61] offset0:6 offset1:7
	v_pk_fma_f32 v[60:61], v[50:51], s[14:15], v[160:161] neg_lo:[0,0,1] neg_hi:[0,0,1]
	v_pk_fma_f32 v[80:81], v[68:69], s[22:23], v[144:145] neg_lo:[0,0,1] neg_hi:[0,0,1]
	v_mov_b32_e32 v167, v61
	v_pk_fma_f32 v[60:61], v[62:63], s[20:21], v[168:169] neg_lo:[0,0,1] neg_hi:[0,0,1]
	v_mov_b32_e32 v151, v81
	v_mov_b32_e32 v173, v61
	v_pk_fma_f32 v[60:61], v[68:69], s[6:7], v[170:171] neg_lo:[0,0,1] neg_hi:[0,0,1]
	v_pk_fma_f32 v[80:81], v[74:75], s[10:11], v[148:149] neg_lo:[0,0,1] neg_hi:[0,0,1]
	v_mov_b32_e32 v177, v61
	v_pk_fma_f32 v[60:61], v[74:75], s[44:45], v[174:175] neg_lo:[0,0,1] neg_hi:[0,0,1]
	v_mov_b32_e32 v155, v81
	v_mov_b32_e32 v181, v61
	v_pk_fma_f32 v[60:61], v[82:83], s[22:23], v[178:179] neg_lo:[0,0,1] neg_hi:[0,0,1]
	v_pk_fma_f32 v[80:81], v[82:83], s[44:45], v[152:153] neg_lo:[0,0,1] neg_hi:[0,0,1]
	v_mov_b32_e32 v185, v61
	v_pk_fma_f32 v[60:61], v[88:89], s[12:13], v[182:183] neg_lo:[0,0,1] neg_hi:[0,0,1]
	v_mov_b32_e32 v159, v81
	;; [unrolled: 2-line block ×3, first 2 shown]
	v_pk_add_f32 v[60:61], v[52:53], v[166:167]
	v_mov_b32_e32 v163, v81
	v_pk_add_f32 v[80:81], v[52:53], v[126:127]
	v_pk_add_f32 v[60:61], v[172:173], v[60:61]
	;; [unrolled: 1-line block ×11, first 2 shown]
	ds_write2_b64 v137, v[60:61], v[80:81] offset0:8 offset1:9
	v_pk_fma_f32 v[60:61], v[50:51], s[10:11], v[106:107] neg_lo:[0,0,1] neg_hi:[0,0,1]
	v_pk_fma_f32 v[10:11], v[50:51], s[6:7], v[10:11] neg_lo:[0,0,1] neg_hi:[0,0,1]
	v_mov_b32_e32 v103, v61
	v_pk_fma_f32 v[60:61], v[62:63], s[16:17], v[108:109] neg_lo:[0,0,1] neg_hi:[0,0,1]
	v_mov_b32_e32 v3, v11
	v_mov_b32_e32 v105, v61
	v_pk_fma_f32 v[60:61], v[68:69], s[34:35], v[116:117] neg_lo:[0,0,1] neg_hi:[0,0,1]
	v_pk_fma_f32 v[10:11], v[62:63], s[12:13], v[14:15] neg_lo:[0,0,1] neg_hi:[0,0,1]
	v_mov_b32_e32 v111, v61
	v_pk_fma_f32 v[60:61], v[74:75], s[22:23], v[120:121] neg_lo:[0,0,1] neg_hi:[0,0,1]
	v_mov_b32_e32 v7, v11
	v_mov_b32_e32 v113, v61
	v_pk_fma_f32 v[60:61], v[82:83], s[6:7], v[122:123] neg_lo:[0,0,1] neg_hi:[0,0,1]
	v_pk_fma_f32 v[10:11], v[68:69], s[16:17], v[26:27] neg_lo:[0,0,1] neg_hi:[0,0,1]
	v_mov_b32_e32 v115, v61
	v_pk_fma_f32 v[60:61], v[88:89], s[14:15], v[124:125] neg_lo:[0,0,1] neg_hi:[0,0,1]
	v_pk_add_f32 v[2:3], v[52:53], v[2:3]
	v_mov_b32_e32 v119, v61
	v_pk_add_f32 v[60:61], v[52:53], v[102:103]
	v_mov_b32_e32 v19, v11
	v_pk_add_f32 v[60:61], v[104:105], v[60:61]
	v_pk_fma_f32 v[10:11], v[74:75], s[18:19], v[34:35] neg_lo:[0,0,1] neg_hi:[0,0,1]
	v_pk_add_f32 v[2:3], v[6:7], v[2:3]
	v_pk_add_f32 v[60:61], v[110:111], v[60:61]
	v_mov_b32_e32 v23, v11
	v_pk_fma_f32 v[10:11], v[82:83], s[20:21], v[38:39] neg_lo:[0,0,1] neg_hi:[0,0,1]
	v_pk_add_f32 v[2:3], v[18:19], v[2:3]
	v_pk_add_f32 v[60:61], v[112:113], v[60:61]
	v_mov_b32_e32 v31, v11
	;; [unrolled: 4-line block ×3, first 2 shown]
	v_pk_add_f32 v[2:3], v[30:31], v[2:3]
	v_pk_add_f32 v[60:61], v[118:119], v[60:61]
	;; [unrolled: 1-line block ×3, first 2 shown]
	ds_write2_b64 v137, v[60:61], v[2:3] offset0:10 offset1:11
	v_pk_fma_f32 v[2:3], v[50:51], s[2:3], v[54:55] neg_lo:[0,0,1] neg_hi:[0,0,1]
	v_pk_fma_f32 v[6:7], v[62:63], s[6:7], v[66:67] neg_lo:[0,0,1] neg_hi:[0,0,1]
	v_mov_b32_e32 v57, v3
	v_pk_add_f32 v[2:3], v[52:53], v[56:57]
	v_mov_b32_e32 v65, v7
	v_pk_fma_f32 v[6:7], v[68:69], s[10:11], v[70:71] neg_lo:[0,0,1] neg_hi:[0,0,1]
	v_pk_add_f32 v[2:3], v[64:65], v[2:3]
	v_mov_b32_e32 v73, v7
	v_pk_fma_f32 v[6:7], v[74:75], s[12:13], v[76:77] neg_lo:[0,0,1] neg_hi:[0,0,1]
	;; [unrolled: 3-line block ×4, first 2 shown]
	v_pk_add_f32 v[2:3], v[86:87], v[2:3]
	v_mov_b32_e32 v93, v7
	v_pk_add_f32 v[2:3], v[92:93], v[2:3]
	v_cmp_gt_u32_e64 s[0:1], 8, v128
	ds_write_b64 v137, v[2:3] offset:96
	s_and_saveexec_b64 s[56:57], s[0:1]
	s_cbranch_execz .LBB0_15
; %bb.14:
	v_pk_add_f32 v[26:27], v[8:9], v[58:59] neg_lo:[0,1] neg_hi:[0,1]
	v_pk_add_f32 v[22:23], v[58:59], v[8:9]
	v_pk_add_f32 v[8:9], v[0:1], v[8:9]
	v_pk_add_f32 v[34:35], v[28:29], v[4:5] neg_lo:[0,1] neg_hi:[0,1]
	v_pk_add_f32 v[8:9], v[8:9], v[20:21]
	v_pk_add_f32 v[14:15], v[4:5], v[28:29]
	;; [unrolled: 1-line block ×3, first 2 shown]
	v_mov_b32_e32 v64, v22
	v_pk_add_f32 v[8:9], v[8:9], v[36:37]
	v_mov_b32_e32 v65, v26
	v_pk_add_f32 v[8:9], v[8:9], v[40:41]
	v_pk_add_f32 v[42:43], v[40:41], v[24:25] neg_lo:[0,1] neg_hi:[0,1]
	v_pk_add_f32 v[8:9], v[8:9], v[44:45]
	v_pk_add_f32 v[6:7], v[24:25], v[40:41]
	;; [unrolled: 1-line block ×3, first 2 shown]
	v_mov_b32_e32 v22, v27
	v_pk_add_f32 v[8:9], v[8:9], v[24:25]
	v_pk_add_f32 v[30:31], v[20:21], v[16:17] neg_lo:[0,1] neg_hi:[0,1]
	v_pk_add_f32 v[8:9], v[8:9], v[12:13]
	v_pk_add_f32 v[18:19], v[16:17], v[20:21]
	;; [unrolled: 1-line block ×3, first 2 shown]
	v_pk_add_f32 v[38:39], v[36:37], v[12:13] neg_lo:[0,1] neg_hi:[0,1]
	v_pk_add_f32 v[4:5], v[4:5], v[16:17]
	v_pk_add_f32 v[10:11], v[12:13], v[36:37]
	;; [unrolled: 1-line block ×3, first 2 shown]
	v_pk_mul_f32 v[4:5], v[64:65], s[38:39]
	v_mov_b32_e32 v66, v18
	v_pk_fma_f32 v[12:13], v[22:23], s[2:3], v[4:5] neg_lo:[1,0,0] neg_hi:[1,0,0]
	v_pk_fma_f32 v[8:9], v[22:23], s[2:3], v[4:5]
	v_mov_b32_e32 v67, v30
	v_mov_b32_e32 v13, v9
	v_pk_add_f32 v[20:21], v[0:1], v[12:13]
	v_pk_mul_f32 v[12:13], v[66:67], s[28:29]
	v_mov_b32_e32 v18, v31
	v_pk_fma_f32 v[24:25], v[18:19], s[6:7], v[12:13] neg_lo:[1,0,0] neg_hi:[1,0,0]
	v_pk_fma_f32 v[16:17], v[18:19], s[6:7], v[12:13]
	v_mov_b32_e32 v68, v14
	v_mov_b32_e32 v25, v17
	v_mov_b32_e32 v69, v34
	v_pk_add_f32 v[26:27], v[24:25], v[20:21]
	v_pk_mul_f32 v[20:21], v[68:69], s[36:37]
	v_mov_b32_e32 v14, v35
	v_pk_fma_f32 v[28:29], v[14:15], s[10:11], v[20:21] neg_lo:[1,0,0] neg_hi:[1,0,0]
	v_pk_fma_f32 v[24:25], v[14:15], s[10:11], v[20:21]
	v_mov_b32_e32 v70, v10
	v_mov_b32_e32 v29, v25
	;; [unrolled: 1-line block ×3, first 2 shown]
	v_pk_add_f32 v[30:31], v[28:29], v[26:27]
	v_pk_mul_f32 v[26:27], v[70:71], s[24:25]
	v_mov_b32_e32 v10, v39
	v_pk_add_f32 v[46:47], v[44:45], v[32:33] neg_lo:[0,1] neg_hi:[0,1]
	v_pk_add_f32 v[2:3], v[32:33], v[44:45]
	v_pk_fma_f32 v[32:33], v[10:11], s[12:13], v[26:27] neg_lo:[1,0,0] neg_hi:[1,0,0]
	v_pk_fma_f32 v[28:29], v[10:11], s[12:13], v[26:27]
	v_mov_b32_e32 v72, v6
	v_mov_b32_e32 v33, v29
	v_mov_b32_e32 v73, v42
	v_pk_add_f32 v[34:35], v[32:33], v[30:31]
	v_pk_mul_f32 v[30:31], v[72:73], s[26:27]
	v_mov_b32_e32 v6, v43
	v_pk_fma_f32 v[36:37], v[6:7], s[14:15], v[30:31] neg_lo:[1,0,0] neg_hi:[1,0,0]
	v_pk_fma_f32 v[32:33], v[6:7], s[14:15], v[30:31]
	v_mov_b32_e32 v74, v2
	v_mov_b32_e32 v37, v33
	;; [unrolled: 1-line block ×3, first 2 shown]
	v_pk_add_f32 v[38:39], v[36:37], v[34:35]
	v_pk_mul_f32 v[34:35], v[74:75], s[30:31]
	v_mov_b32_e32 v2, v47
	v_pk_fma_f32 v[42:43], v[2:3], s[16:17], v[34:35] neg_lo:[1,0,0] neg_hi:[1,0,0]
	v_pk_fma_f32 v[36:37], v[2:3], s[16:17], v[34:35]
	v_mul_i32_i24_e32 v50, 0x68, v135
	v_mov_b32_e32 v43, v37
	v_add3_u32 v137, 0, v50, v136
	v_pk_add_f32 v[38:39], v[42:43], v[38:39]
	ds_write2_b64 v137, v[40:41], v[38:39] offset1:1
	v_pk_mul_f32 v[40:41], v[64:65], s[28:29]
	v_pk_mul_f32 v[44:45], v[66:67], s[24:25]
	v_pk_fma_f32 v[42:43], v[22:23], s[6:7], v[40:41] neg_lo:[1,0,0] neg_hi:[1,0,0]
	v_pk_fma_f32 v[38:39], v[22:23], s[6:7], v[40:41]
	v_pk_fma_f32 v[50:51], v[18:19], s[12:13], v[44:45] neg_lo:[1,0,0] neg_hi:[1,0,0]
	v_mov_b32_e32 v43, v39
	v_pk_add_f32 v[46:47], v[0:1], v[42:43]
	v_pk_fma_f32 v[42:43], v[18:19], s[12:13], v[44:45]
	v_pk_mul_f32 v[84:85], v[66:67], s[30:31]
	v_mov_b32_e32 v51, v43
	v_pk_add_f32 v[52:53], v[50:51], v[46:47]
	v_pk_mul_f32 v[50:51], v[68:69], s[30:31]
	v_pk_fma_f32 v[86:87], v[18:19], s[16:17], v[84:85] neg_lo:[1,0,0] neg_hi:[1,0,0]
	v_pk_fma_f32 v[54:55], v[14:15], s[16:17], v[50:51] neg_lo:[1,0,0] neg_hi:[1,0,0]
	v_pk_fma_f32 v[46:47], v[14:15], s[16:17], v[50:51]
	v_pk_fma_f32 v[88:89], v[18:19], s[16:17], v[84:85]
	v_mov_b32_e32 v55, v47
	v_pk_add_f32 v[56:57], v[54:55], v[52:53]
	v_pk_mul_f32 v[54:55], v[70:71], s[48:49]
	v_mov_b32_e32 v87, v89
	v_pk_fma_f32 v[58:59], v[10:11], s[18:19], v[54:55] neg_lo:[1,0,0] neg_hi:[1,0,0]
	v_pk_fma_f32 v[52:53], v[10:11], s[18:19], v[54:55]
	v_pk_mul_f32 v[106:107], v[66:67], s[48:49]
	v_mov_b32_e32 v59, v53
	v_pk_add_f32 v[60:61], v[58:59], v[56:57]
	v_pk_mul_f32 v[58:59], v[72:73], s[40:41]
	v_pk_fma_f32 v[108:109], v[18:19], s[18:19], v[106:107] neg_lo:[1,0,0] neg_hi:[1,0,0]
	v_pk_fma_f32 v[62:63], v[6:7], s[20:21], v[58:59] neg_lo:[1,0,0] neg_hi:[1,0,0]
	v_pk_fma_f32 v[56:57], v[6:7], s[20:21], v[58:59]
	v_pk_fma_f32 v[110:111], v[18:19], s[18:19], v[106:107]
	v_mov_b32_e32 v63, v57
	v_pk_add_f32 v[76:77], v[62:63], v[60:61]
	v_pk_mul_f32 v[62:63], v[74:75], s[42:43]
	v_mov_b32_e32 v109, v111
	v_pk_fma_f32 v[78:79], v[2:3], s[22:23], v[62:63] neg_lo:[1,0,0] neg_hi:[1,0,0]
	v_pk_fma_f32 v[60:61], v[2:3], s[22:23], v[62:63]
	v_pk_mul_f32 v[142:143], v[66:67], s[40:41]
	v_mov_b32_e32 v79, v61
	v_pk_add_f32 v[76:77], v[78:79], v[76:77]
	v_pk_mul_f32 v[78:79], v[64:65], s[36:37]
	v_pk_fma_f32 v[144:145], v[18:19], s[20:21], v[142:143] neg_lo:[1,0,0] neg_hi:[1,0,0]
	v_pk_fma_f32 v[80:81], v[22:23], s[10:11], v[78:79] neg_lo:[1,0,0] neg_hi:[1,0,0]
	v_pk_fma_f32 v[82:83], v[22:23], s[10:11], v[78:79]
	v_pk_fma_f32 v[146:147], v[18:19], s[20:21], v[142:143]
	v_mov_b32_e32 v81, v83
	v_pk_add_f32 v[80:81], v[0:1], v[80:81]
	v_mov_b32_e32 v145, v147
	v_pk_add_f32 v[80:81], v[86:87], v[80:81]
	v_pk_mul_f32 v[86:87], v[68:69], s[54:55]
	v_pk_mul_f32 v[66:67], v[66:67], s[42:43]
	v_pk_fma_f32 v[90:91], v[14:15], s[34:35], v[86:87] neg_lo:[1,0,0] neg_hi:[1,0,0]
	v_pk_fma_f32 v[92:93], v[14:15], s[34:35], v[86:87]
	v_pk_fma_f32 v[164:165], v[18:19], s[22:23], v[66:67]
	v_mov_b32_e32 v91, v93
	v_pk_add_f32 v[80:81], v[90:91], v[80:81]
	v_pk_mul_f32 v[90:91], v[70:71], s[42:43]
	v_pk_fma_f32 v[40:41], v[22:23], s[6:7], v[40:41] neg_lo:[0,0,1] neg_hi:[0,0,1]
	v_pk_fma_f32 v[94:95], v[10:11], s[22:23], v[90:91] neg_lo:[1,0,0] neg_hi:[1,0,0]
	v_pk_fma_f32 v[96:97], v[10:11], s[22:23], v[90:91]
	v_pk_fma_f32 v[4:5], v[22:23], s[2:3], v[4:5] neg_lo:[0,0,1] neg_hi:[0,0,1]
	v_mov_b32_e32 v95, v97
	v_pk_add_f32 v[80:81], v[94:95], v[80:81]
	v_pk_mul_f32 v[94:95], v[72:73], s[28:29]
	v_mov_b32_e32 v39, v41
	v_pk_fma_f32 v[98:99], v[6:7], s[6:7], v[94:95] neg_lo:[1,0,0] neg_hi:[1,0,0]
	v_pk_fma_f32 v[100:101], v[6:7], s[6:7], v[94:95]
	v_pk_fma_f32 v[40:41], v[18:19], s[12:13], v[44:45] neg_lo:[0,0,1] neg_hi:[0,0,1]
	v_mov_b32_e32 v99, v101
	v_pk_add_f32 v[80:81], v[98:99], v[80:81]
	v_pk_mul_f32 v[98:99], v[74:75], s[26:27]
	v_mov_b32_e32 v9, v5
	v_pk_fma_f32 v[102:103], v[2:3], s[14:15], v[98:99] neg_lo:[1,0,0] neg_hi:[1,0,0]
	v_pk_fma_f32 v[104:105], v[2:3], s[14:15], v[98:99]
	v_pk_fma_f32 v[4:5], v[18:19], s[6:7], v[12:13] neg_lo:[0,0,1] neg_hi:[0,0,1]
	v_mov_b32_e32 v103, v105
	v_pk_add_f32 v[80:81], v[102:103], v[80:81]
	ds_write2_b64 v137, v[76:77], v[80:81] offset0:2 offset1:3
	v_pk_mul_f32 v[76:77], v[64:65], s[24:25]
	v_pk_add_f32 v[38:39], v[0:1], v[38:39]
	v_pk_fma_f32 v[80:81], v[22:23], s[12:13], v[76:77] neg_lo:[1,0,0] neg_hi:[1,0,0]
	v_pk_fma_f32 v[102:103], v[22:23], s[12:13], v[76:77]
	v_mov_b32_e32 v43, v41
	v_mov_b32_e32 v81, v103
	v_pk_add_f32 v[80:81], v[0:1], v[80:81]
	v_pk_fma_f32 v[40:41], v[14:15], s[16:17], v[50:51] neg_lo:[0,0,1] neg_hi:[0,0,1]
	v_pk_add_f32 v[80:81], v[108:109], v[80:81]
	v_pk_mul_f32 v[108:109], v[68:69], s[42:43]
	v_mov_b32_e32 v17, v5
	v_pk_fma_f32 v[112:113], v[14:15], s[22:23], v[108:109] neg_lo:[1,0,0] neg_hi:[1,0,0]
	v_pk_fma_f32 v[114:115], v[14:15], s[22:23], v[108:109]
	v_pk_fma_f32 v[4:5], v[14:15], s[10:11], v[20:21] neg_lo:[0,0,1] neg_hi:[0,0,1]
	v_mov_b32_e32 v113, v115
	v_pk_add_f32 v[80:81], v[112:113], v[80:81]
	v_pk_mul_f32 v[112:113], v[70:71], s[36:37]
	v_pk_add_f32 v[38:39], v[42:43], v[38:39]
	v_pk_fma_f32 v[116:117], v[10:11], s[10:11], v[112:113] neg_lo:[1,0,0] neg_hi:[1,0,0]
	v_pk_fma_f32 v[118:119], v[10:11], s[10:11], v[112:113]
	v_mov_b32_e32 v47, v41
	v_mov_b32_e32 v117, v119
	v_pk_add_f32 v[80:81], v[116:117], v[80:81]
	v_pk_mul_f32 v[116:117], v[72:73], s[52:53]
	v_pk_fma_f32 v[40:41], v[10:11], s[18:19], v[54:55] neg_lo:[0,0,1] neg_hi:[0,0,1]
	v_pk_fma_f32 v[120:121], v[6:7], s[44:45], v[116:117] neg_lo:[1,0,0] neg_hi:[1,0,0]
	v_pk_fma_f32 v[122:123], v[6:7], s[44:45], v[116:117]
	v_mov_b32_e32 v25, v5
	v_mov_b32_e32 v121, v123
	v_pk_add_f32 v[80:81], v[120:121], v[80:81]
	v_pk_mul_f32 v[120:121], v[74:75], s[50:51]
	v_pk_fma_f32 v[4:5], v[10:11], s[12:13], v[26:27] neg_lo:[0,0,1] neg_hi:[0,0,1]
	v_pk_fma_f32 v[124:125], v[2:3], s[46:47], v[120:121] neg_lo:[1,0,0] neg_hi:[1,0,0]
	v_pk_fma_f32 v[126:127], v[2:3], s[46:47], v[120:121]
	v_pk_add_f32 v[38:39], v[46:47], v[38:39]
	v_mov_b32_e32 v125, v127
	v_pk_add_f32 v[80:81], v[124:125], v[80:81]
	v_pk_mul_f32 v[124:125], v[64:65], s[26:27]
	v_pk_mul_f32 v[64:65], v[64:65], s[30:31]
	v_pk_fma_f32 v[138:139], v[22:23], s[14:15], v[124:125] neg_lo:[1,0,0] neg_hi:[1,0,0]
	v_pk_fma_f32 v[140:141], v[22:23], s[14:15], v[124:125]
	v_mov_b32_e32 v53, v41
	v_mov_b32_e32 v139, v141
	v_pk_add_f32 v[138:139], v[0:1], v[138:139]
	v_pk_fma_f32 v[40:41], v[6:7], s[20:21], v[58:59] neg_lo:[0,0,1] neg_hi:[0,0,1]
	v_pk_add_f32 v[138:139], v[144:145], v[138:139]
	v_pk_mul_f32 v[144:145], v[68:69], s[28:29]
	v_pk_mul_f32 v[68:69], v[68:69], s[26:27]
	v_pk_fma_f32 v[148:149], v[14:15], s[6:7], v[144:145] neg_lo:[1,0,0] neg_hi:[1,0,0]
	v_pk_fma_f32 v[150:151], v[14:15], s[6:7], v[144:145]
	v_pk_fma_f32 v[166:167], v[14:15], s[14:15], v[68:69]
	v_mov_b32_e32 v149, v151
	v_pk_add_f32 v[138:139], v[148:149], v[138:139]
	v_pk_mul_f32 v[148:149], v[70:71], s[52:53]
	v_pk_mul_f32 v[70:71], v[70:71], s[50:51]
	v_pk_fma_f32 v[152:153], v[10:11], s[44:45], v[148:149] neg_lo:[1,0,0] neg_hi:[1,0,0]
	v_pk_fma_f32 v[154:155], v[10:11], s[44:45], v[148:149]
	v_pk_fma_f32 v[168:169], v[10:11], s[46:47], v[70:71]
	v_mov_b32_e32 v153, v155
	;; [unrolled: 7-line block ×4, first 2 shown]
	v_pk_add_f32 v[138:139], v[160:161], v[138:139]
	ds_write2_b64 v137, v[80:81], v[138:139] offset0:4 offset1:5
	v_pk_fma_f32 v[80:81], v[22:23], s[16:17], v[64:65] neg_lo:[1,0,0] neg_hi:[1,0,0]
	v_pk_fma_f32 v[138:139], v[22:23], s[16:17], v[64:65]
	v_pk_fma_f32 v[160:161], v[18:19], s[22:23], v[66:67] neg_lo:[1,0,0] neg_hi:[1,0,0]
	v_mov_b32_e32 v81, v139
	v_pk_add_f32 v[80:81], v[0:1], v[80:81]
	v_mov_b32_e32 v161, v165
	v_pk_add_f32 v[80:81], v[160:161], v[80:81]
	v_pk_fma_f32 v[160:161], v[14:15], s[14:15], v[68:69] neg_lo:[1,0,0] neg_hi:[1,0,0]
	v_pk_fma_f32 v[66:67], v[18:19], s[22:23], v[66:67] neg_lo:[0,0,1] neg_hi:[0,0,1]
	v_mov_b32_e32 v161, v167
	v_pk_add_f32 v[80:81], v[160:161], v[80:81]
	v_pk_fma_f32 v[160:161], v[10:11], s[46:47], v[70:71] neg_lo:[1,0,0] neg_hi:[1,0,0]
	v_mov_b32_e32 v165, v67
	v_mov_b32_e32 v161, v169
	v_pk_fma_f32 v[66:67], v[14:15], s[14:15], v[68:69] neg_lo:[0,0,1] neg_hi:[0,0,1]
	v_pk_add_f32 v[80:81], v[160:161], v[80:81]
	v_pk_fma_f32 v[160:161], v[6:7], s[12:13], v[72:73] neg_lo:[1,0,0] neg_hi:[1,0,0]
	v_pk_fma_f32 v[64:65], v[22:23], s[16:17], v[64:65] neg_lo:[0,0,1] neg_hi:[0,0,1]
	v_mov_b32_e32 v167, v67
	v_pk_fma_f32 v[66:67], v[10:11], s[46:47], v[70:71] neg_lo:[0,0,1] neg_hi:[0,0,1]
	v_mov_b32_e32 v161, v171
	v_mov_b32_e32 v139, v65
	;; [unrolled: 1-line block ×3, first 2 shown]
	v_pk_fma_f32 v[66:67], v[6:7], s[12:13], v[72:73] neg_lo:[0,0,1] neg_hi:[0,0,1]
	v_pk_add_f32 v[80:81], v[160:161], v[80:81]
	v_pk_fma_f32 v[160:161], v[2:3], s[20:21], v[74:75] neg_lo:[1,0,0] neg_hi:[1,0,0]
	v_pk_add_f32 v[64:65], v[0:1], v[138:139]
	v_mov_b32_e32 v171, v67
	v_pk_fma_f32 v[66:67], v[2:3], s[20:21], v[74:75] neg_lo:[0,0,1] neg_hi:[0,0,1]
	v_mov_b32_e32 v161, v173
	v_pk_add_f32 v[64:65], v[164:165], v[64:65]
	v_mov_b32_e32 v173, v67
	v_pk_fma_f32 v[66:67], v[18:19], s[20:21], v[142:143] neg_lo:[0,0,1] neg_hi:[0,0,1]
	v_pk_add_f32 v[64:65], v[166:167], v[64:65]
	v_mov_b32_e32 v147, v67
	v_pk_fma_f32 v[66:67], v[14:15], s[6:7], v[144:145] neg_lo:[0,0,1] neg_hi:[0,0,1]
	;; [unrolled: 3-line block ×4, first 2 shown]
	v_pk_add_f32 v[80:81], v[160:161], v[80:81]
	v_pk_add_f32 v[64:65], v[172:173], v[64:65]
	v_mov_b32_e32 v159, v67
	v_pk_fma_f32 v[66:67], v[2:3], s[12:13], v[156:157] neg_lo:[0,0,1] neg_hi:[0,0,1]
	ds_write2_b64 v137, v[80:81], v[64:65] offset0:6 offset1:7
	v_pk_fma_f32 v[64:65], v[22:23], s[14:15], v[124:125] neg_lo:[0,0,1] neg_hi:[0,0,1]
	v_mov_b32_e32 v163, v67
	v_pk_fma_f32 v[66:67], v[22:23], s[12:13], v[76:77] neg_lo:[0,0,1] neg_hi:[0,0,1]
	v_mov_b32_e32 v141, v65
	v_mov_b32_e32 v103, v67
	v_pk_fma_f32 v[68:69], v[18:19], s[18:19], v[106:107] neg_lo:[0,0,1] neg_hi:[0,0,1]
	v_pk_add_f32 v[64:65], v[0:1], v[140:141]
	v_pk_add_f32 v[66:67], v[0:1], v[102:103]
	v_mov_b32_e32 v111, v69
	v_pk_fma_f32 v[68:69], v[14:15], s[22:23], v[108:109] neg_lo:[0,0,1] neg_hi:[0,0,1]
	v_pk_add_f32 v[64:65], v[146:147], v[64:65]
	v_pk_add_f32 v[66:67], v[110:111], v[66:67]
	;; [unrolled: 4-line block ×5, first 2 shown]
	v_mov_b32_e32 v127, v69
	v_pk_add_f32 v[64:65], v[162:163], v[64:65]
	v_pk_add_f32 v[66:67], v[126:127], v[66:67]
	ds_write2_b64 v137, v[64:65], v[66:67] offset0:8 offset1:9
	v_pk_fma_f32 v[64:65], v[22:23], s[10:11], v[78:79] neg_lo:[0,0,1] neg_hi:[0,0,1]
	v_pk_fma_f32 v[66:67], v[18:19], s[16:17], v[84:85] neg_lo:[0,0,1] neg_hi:[0,0,1]
	v_mov_b32_e32 v83, v65
	v_pk_add_f32 v[64:65], v[0:1], v[82:83]
	v_mov_b32_e32 v89, v67
	v_pk_fma_f32 v[66:67], v[14:15], s[34:35], v[86:87] neg_lo:[0,0,1] neg_hi:[0,0,1]
	v_pk_add_f32 v[0:1], v[0:1], v[8:9]
	v_pk_add_f32 v[64:65], v[88:89], v[64:65]
	v_mov_b32_e32 v93, v67
	v_pk_fma_f32 v[66:67], v[10:11], s[22:23], v[90:91] neg_lo:[0,0,1] neg_hi:[0,0,1]
	v_pk_add_f32 v[0:1], v[16:17], v[0:1]
	;; [unrolled: 4-line block ×3, first 2 shown]
	v_mov_b32_e32 v29, v5
	v_pk_fma_f32 v[4:5], v[6:7], s[14:15], v[30:31] neg_lo:[0,0,1] neg_hi:[0,0,1]
	v_pk_add_f32 v[64:65], v[96:97], v[64:65]
	v_mov_b32_e32 v101, v67
	v_pk_fma_f32 v[66:67], v[2:3], s[14:15], v[98:99] neg_lo:[0,0,1] neg_hi:[0,0,1]
	v_pk_add_f32 v[38:39], v[52:53], v[38:39]
	v_mov_b32_e32 v57, v41
	v_pk_fma_f32 v[40:41], v[2:3], s[22:23], v[62:63] neg_lo:[0,0,1] neg_hi:[0,0,1]
	v_pk_add_f32 v[0:1], v[28:29], v[0:1]
	v_mov_b32_e32 v33, v5
	v_pk_fma_f32 v[2:3], v[2:3], s[16:17], v[34:35] neg_lo:[0,0,1] neg_hi:[0,0,1]
	v_pk_add_f32 v[64:65], v[100:101], v[64:65]
	v_mov_b32_e32 v105, v67
	v_pk_add_f32 v[38:39], v[56:57], v[38:39]
	v_mov_b32_e32 v61, v41
	v_pk_add_f32 v[0:1], v[32:33], v[0:1]
	;; [unrolled: 2-line block ×3, first 2 shown]
	v_pk_add_f32 v[38:39], v[60:61], v[38:39]
	v_pk_add_f32 v[0:1], v[36:37], v[0:1]
	ds_write2_b64 v137, v[64:65], v[38:39] offset0:10 offset1:11
	ds_write_b64 v137, v[0:1] offset:96
.LBB0_15:
	s_or_b64 exec, exec, s[56:57]
	v_lshlrev_b32_e32 v4, 1, v128
	v_mov_b32_e32 v5, 0
	v_lshl_add_u64 v[0:1], v[4:5], 3, s[4:5]
	s_waitcnt lgkmcnt(0)
	; wave barrier
	s_waitcnt lgkmcnt(0)
	global_load_dwordx4 v[6:9], v[0:1], off
	v_add_u32_e32 v44, 0x4e, v128
	s_movk_i32 s1, 0x4f
	v_mul_lo_u16_sdwa v0, v44, s1 dst_sel:DWORD dst_unused:UNUSED_PAD src0_sel:BYTE_0 src1_sel:DWORD
	v_lshrrev_b16_e32 v0, 10, v0
	v_mul_lo_u16_e32 v0, 13, v0
	v_mov_b32_e32 v4, 4
	v_sub_u16_e32 v47, v44, v0
	v_lshlrev_b32_sdwa v0, v4, v47 dst_sel:DWORD dst_unused:UNUSED_PAD src0_sel:DWORD src1_sel:BYTE_0
	v_add_u32_e32 v45, 0x41, v128
	global_load_dwordx4 v[10:13], v0, s[4:5]
	v_mul_lo_u16_sdwa v0, v45, s1 dst_sel:DWORD dst_unused:UNUSED_PAD src0_sel:BYTE_0 src1_sel:DWORD
	v_lshrrev_b16_e32 v0, 10, v0
	v_mul_lo_u16_e32 v0, 13, v0
	v_sub_u16_e32 v60, v45, v0
	v_lshlrev_b32_sdwa v0, v4, v60 dst_sel:DWORD dst_unused:UNUSED_PAD src0_sel:DWORD src1_sel:BYTE_0
	global_load_dwordx4 v[14:17], v0, s[4:5]
	v_mul_lo_u16_sdwa v26, v131, s1 dst_sel:DWORD dst_unused:UNUSED_PAD src0_sel:BYTE_0 src1_sel:DWORD
	v_mul_lo_u16_sdwa v27, v129, s1 dst_sel:DWORD dst_unused:UNUSED_PAD src0_sel:BYTE_0 src1_sel:DWORD
	v_lshrrev_b16_e32 v26, 10, v26
	v_lshrrev_b16_e32 v27, 10, v27
	v_mul_lo_u16_e32 v26, 13, v26
	v_mul_lo_u16_e32 v27, 13, v27
	v_sub_u16_e32 v35, v131, v26
	v_sub_u16_e32 v36, v129, v27
	v_lshlrev_b32_sdwa v37, v4, v35 dst_sel:DWORD dst_unused:UNUSED_PAD src0_sel:DWORD src1_sel:BYTE_0
	ds_read2_b64 v[0:3], v134 offset0:78 offset1:91
	ds_read_b64 v[38:39], v133
	ds_read2_b64 v[18:21], v134 offset0:182 offset1:195
	ds_read2_b64 v[22:25], v134 offset0:104 offset1:117
	v_lshlrev_b32_sdwa v40, v4, v36 dst_sel:DWORD dst_unused:UNUSED_PAD src0_sel:DWORD src1_sel:BYTE_0
	global_load_dwordx4 v[26:29], v37, s[4:5]
	global_load_dwordx4 v[30:33], v40, s[4:5]
	v_lshlrev_b32_e32 v34, 3, v135
	v_add3_u32 v46, 0, v34, v136
	v_mul_lo_u16_sdwa v34, v132, s1 dst_sel:DWORD dst_unused:UNUSED_PAD src0_sel:BYTE_0 src1_sel:DWORD
	v_lshrrev_b16_e32 v34, 10, v34
	v_mul_lo_u16_e32 v34, 13, v34
	v_sub_u16_e32 v34, v132, v34
	v_mov_b32_e32 v61, 3
	v_lshlrev_b32_sdwa v4, v4, v34 dst_sel:DWORD dst_unused:UNUSED_PAD src0_sel:DWORD src1_sel:BYTE_0
	ds_read_b64 v[40:41], v46
	ds_read_b64 v[42:43], v134 offset:2080
	v_lshlrev_b32_sdwa v50, v61, v34 dst_sel:DWORD dst_unused:UNUSED_PAD src0_sel:DWORD src1_sel:BYTE_0
	v_lshlrev_b32_sdwa v51, v61, v35 dst_sel:DWORD dst_unused:UNUSED_PAD src0_sel:DWORD src1_sel:BYTE_0
	;; [unrolled: 1-line block ×3, first 2 shown]
	global_load_dwordx4 v[34:37], v4, s[4:5]
	v_add3_u32 v68, 0, v50, v136
	v_add3_u32 v69, 0, v51, v136
	;; [unrolled: 1-line block ×3, first 2 shown]
	s_mov_b32 s0, 0x3f5db3d7
	s_mov_b32 s2, 0x3eae86e6
	;; [unrolled: 1-line block ×11, first 2 shown]
	s_waitcnt vmcnt(5) lgkmcnt(5)
	v_pk_mul_f32 v[50:51], v[6:7], v[2:3] op_sel:[0,1]
	v_mov_b32_e32 v4, v9
	s_waitcnt lgkmcnt(2)
	v_pk_mul_f32 v[52:53], v[22:23], v[6:7] op_sel:[0,1]
	v_pk_fma_f32 v[54:55], v[6:7], v[2:3], v[50:51] op_sel:[0,0,1] op_sel_hi:[1,1,0] neg_lo:[0,0,1] neg_hi:[0,0,1]
	v_pk_fma_f32 v[2:3], v[6:7], v[2:3], v[50:51] op_sel:[0,0,1] op_sel_hi:[1,0,0]
	v_pk_mul_f32 v[50:51], v[18:19], v[4:5] op_sel_hi:[1,0]
	v_pk_mul_f32 v[56:57], v[20:21], v[4:5] op_sel_hi:[1,0]
	v_pk_fma_f32 v[58:59], v[22:23], v[6:7], v[52:53] op_sel:[0,0,1] op_sel_hi:[1,1,0] neg_lo:[0,0,1] neg_hi:[0,0,1]
	v_pk_fma_f32 v[6:7], v[22:23], v[6:7], v[52:53] op_sel:[0,0,1] op_sel_hi:[1,0,0]
	v_mov_b32_e32 v55, v3
	v_pk_fma_f32 v[2:3], v[18:19], v[8:9], v[50:51] op_sel:[0,0,1] op_sel_hi:[1,1,0] neg_lo:[0,0,1] neg_hi:[0,0,1]
	v_pk_fma_f32 v[18:19], v[18:19], v[8:9], v[50:51] op_sel:[0,0,1] op_sel_hi:[1,0,0]
	v_pk_fma_f32 v[22:23], v[20:21], v[8:9], v[56:57] op_sel:[0,0,1] op_sel_hi:[1,1,0] neg_lo:[0,0,1] neg_hi:[0,0,1]
	v_pk_fma_f32 v[8:9], v[20:21], v[8:9], v[56:57] op_sel:[0,0,1] op_sel_hi:[1,0,0]
	v_mov_b32_e32 v59, v7
	v_mov_b32_e32 v3, v19
	v_pk_add_f32 v[6:7], v[38:39], v[54:55]
	v_mov_b32_e32 v23, v9
	s_waitcnt lgkmcnt(1)
	v_pk_add_f32 v[8:9], v[40:41], v[58:59]
	v_pk_add_f32 v[50:51], v[6:7], v[2:3]
	;; [unrolled: 1-line block ×3, first 2 shown]
	v_pk_add_f32 v[2:3], v[54:55], v[2:3] neg_lo:[0,1] neg_hi:[0,1]
	v_pk_add_f32 v[52:53], v[8:9], v[22:23]
	v_pk_add_f32 v[8:9], v[58:59], v[22:23]
	v_pk_add_f32 v[18:19], v[58:59], v[22:23] neg_lo:[0,1] neg_hi:[0,1]
	v_pk_fma_f32 v[6:7], v[6:7], 0.5, v[38:39] op_sel_hi:[1,0,1] neg_lo:[1,0,0] neg_hi:[1,0,0]
	v_pk_mul_f32 v[2:3], v[2:3], s[0:1] op_sel_hi:[1,0]
	v_pk_fma_f32 v[8:9], v[8:9], 0.5, v[40:41] op_sel_hi:[1,0,1] neg_lo:[1,0,0] neg_hi:[1,0,0]
	v_pk_mul_f32 v[18:19], v[18:19], s[0:1] op_sel_hi:[1,0]
	v_pk_add_f32 v[22:23], v[6:7], v[2:3] op_sel:[0,1] op_sel_hi:[1,0]
	v_pk_add_f32 v[2:3], v[6:7], v[2:3] op_sel:[0,1] op_sel_hi:[1,0] neg_lo:[0,1] neg_hi:[0,1]
	v_pk_add_f32 v[38:39], v[8:9], v[18:19] op_sel:[0,1] op_sel_hi:[1,0]
	v_pk_add_f32 v[40:41], v[8:9], v[18:19] op_sel:[0,1] op_sel_hi:[1,0] neg_lo:[0,1] neg_hi:[0,1]
	ds_read2_b64 v[6:9], v134 offset0:156 offset1:169
	v_lshlrev_b32_sdwa v4, v61, v60 dst_sel:DWORD dst_unused:UNUSED_PAD src0_sel:DWORD src1_sel:BYTE_0
	v_add3_u32 v71, 0, v4, v136
	v_lshlrev_b32_sdwa v4, v61, v47 dst_sel:DWORD dst_unused:UNUSED_PAD src0_sel:DWORD src1_sel:BYTE_0
	v_add3_u32 v47, 0, v4, v136
	s_waitcnt vmcnt(4) lgkmcnt(0)
	v_pk_mul_f32 v[18:19], v[8:9], v[10:11] op_sel:[0,1]
	v_mov_b32_e32 v4, v13
	v_pk_fma_f32 v[54:55], v[8:9], v[10:11], v[18:19] op_sel:[0,0,1] op_sel_hi:[1,1,0] neg_lo:[0,0,1] neg_hi:[0,0,1]
	v_pk_fma_f32 v[8:9], v[8:9], v[10:11], v[18:19] op_sel:[0,0,1] op_sel_hi:[1,0,0]
	s_nop 0
	v_mov_b32_e32 v55, v9
	v_pk_mul_f32 v[8:9], v[42:43], v[4:5] op_sel_hi:[1,0]
	s_waitcnt vmcnt(3)
	v_mov_b32_e32 v4, v17
	v_pk_fma_f32 v[56:57], v[42:43], v[12:13], v[8:9] op_sel:[0,0,1] op_sel_hi:[1,1,0] neg_lo:[0,0,1] neg_hi:[0,0,1]
	v_pk_fma_f32 v[8:9], v[42:43], v[12:13], v[8:9] op_sel:[0,0,1] op_sel_hi:[1,0,0]
	v_pk_mul_f32 v[12:13], v[6:7], v[14:15] op_sel:[0,1]
	v_mov_b32_e32 v57, v9
	v_pk_add_f32 v[8:9], v[0:1], v[54:55]
	v_pk_fma_f32 v[58:59], v[6:7], v[14:15], v[12:13] op_sel:[0,0,1] op_sel_hi:[1,1,0] neg_lo:[0,0,1] neg_hi:[0,0,1]
	v_pk_add_f32 v[42:43], v[8:9], v[56:57]
	ds_read2_b64 v[8:11], v134 offset0:52 offset1:65
	ds_read2_b64 v[18:21], v134 offset0:234 offset1:247
	v_pk_fma_f32 v[6:7], v[6:7], v[14:15], v[12:13] op_sel:[0,0,1] op_sel_hi:[1,0,0]
	ds_read2_b64 v[12:15], v134 offset0:130 offset1:143
	v_mov_b32_e32 v59, v7
	s_waitcnt lgkmcnt(1)
	v_pk_mul_f32 v[6:7], v[20:21], v[4:5] op_sel_hi:[1,0]
	s_nop 0
	v_pk_fma_f32 v[60:61], v[20:21], v[16:17], v[6:7] op_sel:[0,0,1] op_sel_hi:[1,1,0] neg_lo:[0,0,1] neg_hi:[0,0,1]
	v_pk_fma_f32 v[6:7], v[20:21], v[16:17], v[6:7] op_sel:[0,0,1] op_sel_hi:[1,0,0]
	s_waitcnt vmcnt(1) lgkmcnt(0)
	v_pk_mul_f32 v[16:17], v[14:15], v[30:31] op_sel:[0,1]
	v_mov_b32_e32 v4, v33
	v_pk_fma_f32 v[62:63], v[14:15], v[30:31], v[16:17] op_sel:[0,0,1] op_sel_hi:[1,1,0] neg_lo:[0,0,1] neg_hi:[0,0,1]
	v_pk_fma_f32 v[14:15], v[14:15], v[30:31], v[16:17] op_sel:[0,0,1] op_sel_hi:[1,0,0]
	v_pk_mul_f32 v[64:65], v[12:13], v[26:27] op_sel:[0,1]
	v_mov_b32_e32 v63, v15
	v_pk_mul_f32 v[14:15], v[18:19], v[4:5] op_sel_hi:[1,0]
	v_pk_fma_f32 v[66:67], v[12:13], v[26:27], v[64:65] op_sel:[0,0,1] op_sel_hi:[1,1,0] neg_lo:[0,0,1] neg_hi:[0,0,1]
	v_pk_fma_f32 v[30:31], v[18:19], v[32:33], v[14:15] op_sel:[0,0,1] op_sel_hi:[1,1,0] neg_lo:[0,0,1] neg_hi:[0,0,1]
	v_pk_fma_f32 v[14:15], v[18:19], v[32:33], v[14:15] op_sel:[0,0,1] op_sel_hi:[1,0,0]
	v_pk_fma_f32 v[12:13], v[12:13], v[26:27], v[64:65] op_sel:[0,0,1] op_sel_hi:[1,0,0]
	v_mov_b32_e32 v31, v15
	v_pk_add_f32 v[14:15], v[8:9], v[62:63]
	v_mov_b32_e32 v4, v29
	v_pk_add_f32 v[32:33], v[14:15], v[30:31]
	ds_read2_b64 v[14:17], v134 offset0:26 offset1:39
	ds_read2_b64 v[18:21], v134 offset0:208 offset1:221
	v_mov_b32_e32 v67, v13
	s_waitcnt lgkmcnt(0)
	; wave barrier
	s_waitcnt lgkmcnt(0)
	v_mov_b32_e32 v61, v7
	v_pk_mul_f32 v[12:13], v[20:21], v[4:5] op_sel_hi:[1,0]
	s_waitcnt vmcnt(0)
	v_mov_b32_e32 v4, v37
	v_pk_fma_f32 v[26:27], v[20:21], v[28:29], v[12:13] op_sel:[0,0,1] op_sel_hi:[1,1,0] neg_lo:[0,0,1] neg_hi:[0,0,1]
	v_pk_fma_f32 v[12:13], v[20:21], v[28:29], v[12:13] op_sel:[0,0,1] op_sel_hi:[1,0,0]
	v_pk_mul_f32 v[20:21], v[24:25], v[34:35] op_sel:[0,1]
	v_mov_b32_e32 v27, v13
	v_pk_fma_f32 v[28:29], v[24:25], v[34:35], v[20:21] op_sel:[0,0,1] op_sel_hi:[1,1,0] neg_lo:[0,0,1] neg_hi:[0,0,1]
	v_pk_fma_f32 v[20:21], v[24:25], v[34:35], v[20:21] op_sel:[0,0,1] op_sel_hi:[1,0,0]
	v_pk_add_f32 v[12:13], v[16:17], v[66:67]
	v_mov_b32_e32 v29, v21
	v_pk_mul_f32 v[20:21], v[18:19], v[4:5] op_sel_hi:[1,0]
	v_pk_add_f32 v[12:13], v[12:13], v[26:27]
	v_pk_fma_f32 v[24:25], v[18:19], v[36:37], v[20:21] op_sel:[0,0,1] op_sel_hi:[1,1,0] neg_lo:[0,0,1] neg_hi:[0,0,1]
	v_pk_fma_f32 v[18:19], v[18:19], v[36:37], v[20:21] op_sel:[0,0,1] op_sel_hi:[1,0,0]
	v_mov_b32_e32 v21, v3
	v_mov_b32_e32 v3, v23
	;; [unrolled: 1-line block ×3, first 2 shown]
	ds_write2_b64 v134, v[2:3], v[52:53] offset0:26 offset1:39
	v_mov_b32_e32 v2, v38
	v_mov_b32_e32 v3, v41
	;; [unrolled: 1-line block ×3, first 2 shown]
	ds_write2_b64 v134, v[2:3], v[40:41] offset0:52 offset1:65
	v_pk_add_f32 v[2:3], v[28:29], v[24:25]
	v_pk_add_f32 v[18:19], v[14:15], v[28:29]
	v_pk_fma_f32 v[2:3], v[2:3], 0.5, v[14:15] op_sel_hi:[1,0,1] neg_lo:[1,0,0] neg_hi:[1,0,0]
	v_pk_add_f32 v[14:15], v[28:29], v[24:25] neg_lo:[0,1] neg_hi:[0,1]
	v_mov_b32_e32 v20, v22
	v_pk_mul_f32 v[14:15], v[14:15], s[0:1] op_sel_hi:[1,0]
	ds_write2_b64 v134, v[50:51], v[20:21] offset1:13
	v_pk_add_f32 v[20:21], v[2:3], v[14:15] op_sel:[0,1] op_sel_hi:[1,0]
	v_pk_add_f32 v[2:3], v[2:3], v[14:15] op_sel:[0,1] op_sel_hi:[1,0] neg_lo:[0,1] neg_hi:[0,1]
	v_pk_add_f32 v[18:19], v[18:19], v[24:25]
	v_mov_b32_e32 v14, v20
	v_mov_b32_e32 v15, v3
	;; [unrolled: 1-line block ×3, first 2 shown]
	ds_write2_b64 v68, v[18:19], v[14:15] offset0:78 offset1:91
	ds_write_b64 v68, v[2:3] offset:832
	v_pk_add_f32 v[2:3], v[66:67], v[26:27]
	v_pk_add_f32 v[14:15], v[66:67], v[26:27] neg_lo:[0,1] neg_hi:[0,1]
	v_pk_fma_f32 v[2:3], v[2:3], 0.5, v[16:17] op_sel_hi:[1,0,1] neg_lo:[1,0,0] neg_hi:[1,0,0]
	v_pk_mul_f32 v[14:15], v[14:15], s[0:1] op_sel_hi:[1,0]
	v_pk_add_f32 v[6:7], v[10:11], v[58:59]
	v_pk_add_f32 v[16:17], v[2:3], v[14:15] op_sel:[0,1] op_sel_hi:[1,0]
	v_pk_add_f32 v[2:3], v[2:3], v[14:15] op_sel:[0,1] op_sel_hi:[1,0] neg_lo:[0,1] neg_hi:[0,1]
	v_mov_b32_e32 v14, v16
	v_mov_b32_e32 v15, v3
	v_mov_b32_e32 v3, v17
	ds_write_b64 v69, v[2:3] offset:1144
	v_pk_add_f32 v[2:3], v[62:63], v[30:31]
	ds_write2_b64 v69, v[12:13], v[14:15] offset0:117 offset1:130
	v_pk_fma_f32 v[2:3], v[2:3], 0.5, v[8:9] op_sel_hi:[1,0,1] neg_lo:[1,0,0] neg_hi:[1,0,0]
	v_pk_add_f32 v[8:9], v[62:63], v[30:31] neg_lo:[0,1] neg_hi:[0,1]
	v_pk_add_f32 v[6:7], v[6:7], v[60:61]
	v_pk_mul_f32 v[8:9], v[8:9], s[0:1] op_sel_hi:[1,0]
	v_mul_i32_i24_e32 v4, 6, v135
	v_pk_add_f32 v[12:13], v[2:3], v[8:9] op_sel:[0,1] op_sel_hi:[1,0]
	v_pk_add_f32 v[2:3], v[2:3], v[8:9] op_sel:[0,1] op_sel_hi:[1,0] neg_lo:[0,1] neg_hi:[0,1]
	v_mov_b32_e32 v8, v12
	v_mov_b32_e32 v9, v3
	;; [unrolled: 1-line block ×3, first 2 shown]
	ds_write2_b64 v70, v[32:33], v[8:9] offset0:156 offset1:169
	ds_write_b64 v70, v[2:3] offset:1456
	v_pk_add_f32 v[2:3], v[58:59], v[60:61]
	v_pk_add_f32 v[8:9], v[58:59], v[60:61] neg_lo:[0,1] neg_hi:[0,1]
	v_pk_fma_f32 v[2:3], v[2:3], 0.5, v[10:11] op_sel_hi:[1,0,1] neg_lo:[1,0,0] neg_hi:[1,0,0]
	v_pk_mul_f32 v[8:9], v[8:9], s[0:1] op_sel_hi:[1,0]
	s_nop 0
	v_pk_add_f32 v[10:11], v[2:3], v[8:9] op_sel:[0,1] op_sel_hi:[1,0]
	v_pk_add_f32 v[2:3], v[2:3], v[8:9] op_sel:[0,1] op_sel_hi:[1,0] neg_lo:[0,1] neg_hi:[0,1]
	v_mov_b32_e32 v8, v10
	v_mov_b32_e32 v9, v3
	;; [unrolled: 1-line block ×3, first 2 shown]
	ds_write_b64 v71, v[2:3] offset:1768
	v_pk_add_f32 v[2:3], v[54:55], v[56:57]
	ds_write2_b64 v71, v[6:7], v[8:9] offset0:195 offset1:208
	v_pk_fma_f32 v[0:1], v[2:3], 0.5, v[0:1] op_sel_hi:[1,0,1] neg_lo:[1,0,0] neg_hi:[1,0,0]
	v_pk_add_f32 v[2:3], v[54:55], v[56:57] neg_lo:[0,1] neg_hi:[0,1]
	s_nop 0
	v_pk_mul_f32 v[2:3], v[2:3], s[0:1] op_sel_hi:[1,0]
	s_mov_b32 s0, 0x3ee1c552
	v_pk_add_f32 v[6:7], v[0:1], v[2:3] op_sel:[0,1] op_sel_hi:[1,0]
	v_pk_add_f32 v[0:1], v[0:1], v[2:3] op_sel:[0,1] op_sel_hi:[1,0] neg_lo:[0,1] neg_hi:[0,1]
	v_mov_b32_e32 v2, v6
	v_mov_b32_e32 v3, v1
	;; [unrolled: 1-line block ×3, first 2 shown]
	ds_write_b64 v47, v[0:1] offset:2080
	v_mul_u32_u24_e32 v0, 6, v128
	ds_write2_b64 v47, v[42:43], v[2:3] offset0:234 offset1:247
	v_lshlrev_b32_e32 v2, 3, v0
	s_waitcnt lgkmcnt(0)
	; wave barrier
	s_waitcnt lgkmcnt(0)
	global_load_dwordx4 v[50:53], v2, s[4:5] offset:224
	global_load_dwordx4 v[54:57], v2, s[4:5] offset:240
	v_lshl_add_u64 v[0:1], v[4:5], 3, s[4:5]
	global_load_dwordx4 v[12:15], v[0:1], off offset:208
	global_load_dwordx4 v[8:11], v[0:1], off offset:224
	;; [unrolled: 1-line block ×3, first 2 shown]
	global_load_dwordx4 v[58:61], v2, s[4:5] offset:1456
	global_load_dwordx4 v[62:65], v2, s[4:5] offset:1472
	;; [unrolled: 1-line block ×4, first 2 shown]
	ds_read_b64 v[82:83], v133
	ds_read2_b64 v[0:3], v134 offset0:26 offset1:39
	ds_read2_b64 v[74:77], v134 offset0:104 offset1:117
	;; [unrolled: 1-line block ×6, first 2 shown]
	s_waitcnt lgkmcnt(5)
	v_mov_b32_e32 v38, v3
	s_mov_b32 s4, 0x3f955555
	s_waitcnt vmcnt(5) lgkmcnt(1)
	v_mul_f32_e32 v39, v31, v10
	v_mul_f32_e32 v43, v30, v11
	;; [unrolled: 1-line block ×3, first 2 shown]
	v_pk_mul_f32 v[20:21], v[80:81], v[54:55]
	v_mov_b32_e32 v101, v53
	v_mov_b32_e32 v20, v21
	v_pk_fma_f32 v[86:87], v[80:81], v[54:55], v[20:21] neg_lo:[0,0,1] neg_hi:[0,0,1]
	v_pk_mul_f32 v[20:21], v[26:27], v[14:15]
	s_waitcnt vmcnt(0)
	v_pk_mul_f32 v[96:97], v[70:71], v[2:3] op_sel_hi:[1,0]
	v_mov_b32_e32 v20, v21
	v_pk_fma_f32 v[36:37], v[26:27], v[14:15], v[20:21] neg_lo:[0,0,1] neg_hi:[0,0,1]
	ds_read2_b64 v[20:23], v134 offset0:208 offset1:221
	v_mov_b32_e32 v87, v34
	v_pk_fma_f32 v[2:3], v[70:71], v[2:3], v[96:97] op_sel:[0,1,1] op_sel_hi:[1,1,0] neg_lo:[1,0,0] neg_hi:[1,0,0]
	v_pk_fma_f32 v[98:99], v[70:71], v[38:39], v[96:97] op_sel:[0,0,1] op_sel_hi:[1,1,0]
	v_mov_b32_e32 v70, v24
	s_waitcnt lgkmcnt(0)
	v_pk_mul_f32 v[32:33], v[20:21], v[4:5]
	v_mov_b32_e32 v71, v29
	v_mov_b32_e32 v32, v33
	v_pk_fma_f32 v[40:41], v[20:21], v[4:5], v[32:33] neg_lo:[0,0,1] neg_hi:[0,0,1]
	v_pk_mul_f32 v[32:33], v[74:75], v[60:61]
	v_mul_f32_e32 v2, v73, v25
	v_mov_b32_e32 v32, v33
	v_pk_fma_f32 v[88:89], v[74:75], v[60:61], v[32:33] neg_lo:[0,0,1] neg_hi:[0,0,1]
	v_pk_mul_f32 v[32:33], v[22:23], v[66:67]
	v_mov_b32_e32 v100, v73
	v_mov_b32_e32 v32, v33
	v_pk_fma_f32 v[94:95], v[22:23], v[66:67], v[32:33] neg_lo:[0,0,1] neg_hi:[0,0,1]
	ds_read2_b64 v[32:35], v134 offset0:234 offset1:247
	v_mov_b32_e32 v96, v25
	v_mov_b32_e32 v97, v28
	v_fma_f32 v84, v72, v24, -v2
	v_mov_b32_e32 v24, v72
	v_mov_b32_e32 v25, v52
	v_pk_mul_f32 v[70:71], v[100:101], v[70:71]
	v_mul_f32_e32 v85, v50, v77
	v_pk_fma_f32 v[72:73], v[72:73], v[96:97], v[70:71]
	v_pk_fma_f32 v[24:25], v[24:25], v[96:97], v[70:71] neg_lo:[0,0,1] neg_hi:[0,0,1]
	v_mov_b32_e32 v71, v50
	v_mov_b32_e32 v96, v81
	;; [unrolled: 1-line block ×6, first 2 shown]
	v_pk_mul_f32 v[50:51], v[50:51], v[80:81]
	v_mov_b32_e32 v2, v57
	v_pk_fma_f32 v[54:55], v[54:55], v[96:97], v[50:51]
	v_pk_fma_f32 v[50:51], v[70:71], v[96:97], v[50:51] neg_lo:[0,0,1] neg_hi:[0,0,1]
	s_waitcnt lgkmcnt(0)
	v_pk_mul_f32 v[70:71], v[32:33], v[56:57] op_sel_hi:[1,0]
	v_mov_b32_e32 v24, v57
	v_pk_fma_f32 v[56:57], v[32:33], v[2:3], v[70:71] op_sel:[0,0,1] op_sel_hi:[1,1,0]
	v_pk_fma_f32 v[32:33], v[32:33], v[24:25], v[70:71] op_sel:[0,0,1] op_sel_hi:[1,0,0] neg_lo:[1,0,0] neg_hi:[1,0,0]
	v_mov_b32_e32 v73, v25
	v_mul_f32_e32 v29, v52, v29
	v_mul_f32_e32 v53, v53, v28
	v_mov_b32_e32 v55, v51
	v_mov_b32_e32 v28, v3
	;; [unrolled: 1-line block ×4, first 2 shown]
	v_pk_add_f32 v[76:77], v[72:73], v[54:55]
	v_pk_add_f32 v[54:55], v[72:73], v[54:55] neg_lo:[0,1] neg_hi:[0,1]
	v_pk_add_f32 v[32:33], v[28:29], v[52:53]
	v_pk_add_f32 v[72:73], v[84:85], v[86:87]
	v_mov_b32_e32 v99, v3
	v_mov_b32_e32 v2, v33
	;; [unrolled: 1-line block ×5, first 2 shown]
	v_pk_add_f32 v[70:71], v[98:99], v[56:57]
	v_pk_add_f32 v[56:57], v[98:99], v[56:57] neg_lo:[0,1] neg_hi:[0,1]
	v_pk_add_f32 v[80:81], v[2:3], v[28:29] neg_lo:[0,1] neg_hi:[0,1]
	v_mov_b32_e32 v29, v57
	v_mov_b32_e32 v28, v80
	v_pk_add_f32 v[28:29], v[28:29], v[54:55] neg_lo:[0,1] neg_hi:[0,1]
	v_mov_b32_e32 v50, v51
	v_pk_mul_f32 v[86:87], v[28:29], s[16:17]
	v_pk_add_f32 v[28:29], v[54:55], v[80:81]
	v_mov_b32_e32 v51, v76
	v_mov_b32_e32 v24, v25
	;; [unrolled: 1-line block ×3, first 2 shown]
	v_pk_add_f32 v[96:97], v[28:29], v[56:57]
	v_pk_add_f32 v[28:29], v[72:73], v[32:33]
	;; [unrolled: 1-line block ×3, first 2 shown]
	v_mov_b32_e32 v51, v70
	v_mov_b32_e32 v50, v24
	;; [unrolled: 1-line block ×3, first 2 shown]
	v_pk_add_f32 v[50:51], v[50:51], v[72:73] neg_lo:[0,1] neg_hi:[0,1]
	v_mov_b32_e32 v33, v29
	v_mov_b32_e32 v52, v24
	;; [unrolled: 1-line block ×3, first 2 shown]
	v_pk_add_f32 v[24:25], v[28:29], v[24:25]
	v_pk_add_f32 v[52:53], v[32:33], v[52:53] neg_lo:[0,1] neg_hi:[0,1]
	v_pk_add_f32 v[82:83], v[24:25], v[82:83]
	v_pk_mul_f32 v[100:101], v[50:51], s[10:11]
	ds_read_b64 v[98:99], v46
	ds_read_b64 v[28:29], v134 offset:2080
	v_pk_mul_f32 v[102:103], v[52:53], s[6:7]
	v_pk_fma_f32 v[104:105], v[24:25], s[4:5], v[82:83] op_sel_hi:[1,0,1] neg_lo:[1,0,0] neg_hi:[1,0,0]
	v_pk_fma_f32 v[24:25], v[52:53], s[6:7], v[100:101]
	ds_read2_b64 v[50:53], v134 offset0:52 offset1:65
	v_mov_b32_e32 v2, v56
	v_mov_b32_e32 v3, v55
	v_pk_add_f32 v[2:3], v[2:3], v[80:81] neg_lo:[0,1] neg_hi:[0,1]
	v_pk_add_f32 v[24:25], v[24:25], v[104:105]
	v_pk_mul_f32 v[84:85], v[2:3], s[2:3]
	v_pk_fma_f32 v[2:3], v[2:3], s[2:3], v[86:87]
	v_mov_b32_e32 v38, v59
	v_pk_fma_f32 v[2:3], v[96:97], s[0:1], v[2:3] op_sel_hi:[1,0,1]
	v_mov_b32_e32 v73, v76
	v_pk_add_f32 v[106:107], v[24:25], v[2:3]
	v_pk_add_f32 v[108:109], v[24:25], v[2:3] neg_lo:[0,1] neg_hi:[0,1]
	s_waitcnt lgkmcnt(0)
	v_pk_mul_f32 v[24:25], v[52:53], v[58:59] op_sel_hi:[1,0]
	v_pk_mul_f32 v[76:77], v[50:51], v[12:13] op_sel_hi:[1,0]
	v_pk_fma_f32 v[110:111], v[52:53], v[38:39], v[24:25] op_sel:[0,0,1] op_sel_hi:[1,1,0]
	v_mov_b32_e32 v38, v13
	v_mul_f32_e32 v91, v79, v64
	v_mul_f32_e32 v93, v78, v65
	v_pk_fma_f32 v[24:25], v[52:53], v[58:59], v[24:25] op_sel:[0,1,1] op_sel_hi:[1,1,0] neg_lo:[1,0,0] neg_hi:[1,0,0]
	v_mov_b32_e32 v52, v75
	v_mov_b32_e32 v53, v78
	;; [unrolled: 1-line block ×3, first 2 shown]
	v_pk_fma_f32 v[78:79], v[50:51], v[38:39], v[76:77] op_sel:[0,0,1] op_sel_hi:[1,1,0]
	v_pk_fma_f32 v[12:13], v[50:51], v[12:13], v[76:77] op_sel:[0,1,1] op_sel_hi:[1,1,0] neg_lo:[1,0,0] neg_hi:[1,0,0]
	v_mov_b32_e32 v50, v27
	v_mov_b32_e32 v77, v10
	;; [unrolled: 1-line block ×4, first 2 shown]
	v_mul_f32_e32 v37, v17, v8
	v_pk_mul_f32 v[10:11], v[26:27], v[10:11]
	v_mov_b32_e32 v26, v21
	v_mov_b32_e32 v31, v8
	;; [unrolled: 1-line block ×4, first 2 shown]
	v_mul_f32_e32 v42, v16, v9
	v_mov_b32_e32 v51, v30
	v_mov_b32_e32 v27, v16
	;; [unrolled: 1-line block ×3, first 2 shown]
	v_pk_mul_f32 v[8:9], v[20:21], v[8:9]
	v_mov_b32_e32 v55, v81
	v_mov_b32_e32 v33, v70
	v_pk_fma_f32 v[4:5], v[26:27], v[4:5], v[8:9]
	v_pk_fma_f32 v[8:9], v[26:27], v[30:31], v[8:9] neg_lo:[0,0,1] neg_hi:[0,0,1]
	v_pk_add_f32 v[54:55], v[54:55], v[56:57] neg_lo:[0,1] neg_hi:[0,1]
	v_pk_add_f32 v[32:33], v[72:73], v[32:33] neg_lo:[0,1] neg_hi:[0,1]
	v_mov_b32_e32 v56, v102
	v_mov_b32_e32 v57, v101
	;; [unrolled: 1-line block ×4, first 2 shown]
	v_pk_mul_f32 v[16:17], v[34:35], v[6:7] op_sel_hi:[1,0]
	v_mov_b32_e32 v6, v7
	v_mov_b32_e32 v8, v7
	v_mul_f32_e32 v41, v18, v63
	v_pk_fma_f32 v[56:57], v[32:33], s[14:15], v[56:57] op_sel_hi:[1,0,1] neg_lo:[1,0,1] neg_hi:[1,0,1]
	v_pk_fma_f32 v[70:71], v[54:55], s[12:13], v[70:71] op_sel_hi:[1,0,1] neg_lo:[1,0,1] neg_hi:[1,0,1]
	v_mov_b32_e32 v101, v103
	v_mov_b32_e32 v87, v85
	;; [unrolled: 1-line block ×3, first 2 shown]
	v_pk_fma_f32 v[6:7], v[34:35], v[6:7], v[16:17] op_sel:[0,0,1] op_sel_hi:[1,1,0]
	v_pk_fma_f32 v[16:17], v[34:35], v[8:9], v[16:17] op_sel:[0,0,1] op_sel_hi:[1,0,0] neg_lo:[1,0,0] neg_hi:[1,0,0]
	v_mov_b32_e32 v95, v41
	v_pk_add_f32 v[56:57], v[56:57], v[104:105]
	v_pk_fma_f32 v[70:71], v[96:97], s[0:1], v[70:71] op_sel_hi:[1,0,1]
	v_pk_fma_f32 v[32:33], v[32:33], s[14:15], v[100:101] op_sel_hi:[1,0,1] neg_lo:[0,0,1] neg_hi:[0,0,1]
	v_pk_fma_f32 v[54:55], v[54:55], s[12:13], v[86:87] op_sel_hi:[1,0,1] neg_lo:[0,0,1] neg_hi:[0,0,1]
	v_mov_b32_e32 v41, v42
	v_pk_fma_f32 v[14:15], v[50:51], v[14:15], v[10:11]
	v_pk_fma_f32 v[10:11], v[50:51], v[76:77], v[10:11] neg_lo:[0,0,1] neg_hi:[0,0,1]
	v_mov_b32_e32 v38, v13
	v_mov_b32_e32 v42, v17
	v_pk_add_f32 v[72:73], v[56:57], v[70:71]
	v_pk_add_f32 v[56:57], v[56:57], v[70:71] neg_lo:[0,1] neg_hi:[0,1]
	v_pk_add_f32 v[32:33], v[32:33], v[104:105]
	v_pk_fma_f32 v[54:55], v[96:97], s[0:1], v[54:55] op_sel_hi:[1,0,1]
	v_mov_b32_e32 v79, v13
	v_mov_b32_e32 v15, v11
	;; [unrolled: 1-line block ×4, first 2 shown]
	v_pk_add_f32 v[12:13], v[38:39], v[42:43]
	v_mov_b32_e32 v38, v106
	v_mov_b32_e32 v39, v109
	v_pk_add_f32 v[70:71], v[32:33], v[54:55] neg_lo:[0,1] neg_hi:[0,1]
	v_pk_add_f32 v[32:33], v[32:33], v[54:55]
	v_pk_add_f32 v[54:55], v[36:37], v[40:41]
	;; [unrolled: 1-line block ×4, first 2 shown]
	s_waitcnt lgkmcnt(0)
	; wave barrier
	ds_write_b64 v134, v[38:39] offset:312
	v_mov_b32_e32 v38, v72
	v_mov_b32_e32 v39, v57
	v_pk_add_f32 v[4:5], v[14:15], v[4:5] neg_lo:[0,1] neg_hi:[0,1]
	v_mov_b32_e32 v14, v13
	v_mov_b32_e32 v15, v36
	;; [unrolled: 1-line block ×4, first 2 shown]
	ds_write_b64 v134, v[38:39] offset:624
	v_mov_b32_e32 v39, v33
	v_mov_b32_e32 v33, v71
	;; [unrolled: 1-line block ×6, first 2 shown]
	v_pk_add_f32 v[6:7], v[78:79], v[6:7] neg_lo:[0,1] neg_hi:[0,1]
	v_pk_add_f32 v[14:15], v[14:15], v[16:17] neg_lo:[0,1] neg_hi:[0,1]
	v_mov_b32_e32 v38, v70
	ds_write_b64 v134, v[32:33] offset:1248
	v_pk_add_f32 v[32:33], v[54:55], v[12:13]
	v_pk_add_f32 v[8:9], v[8:9], v[10:11]
	v_mov_b32_e32 v59, v64
	v_mov_b32_e32 v64, v61
	v_mov_b32_e32 v16, v6
	v_mov_b32_e32 v17, v5
	v_mov_b32_e32 v34, v14
	v_mov_b32_e32 v35, v7
	ds_write_b64 v134, v[38:39] offset:936
	v_mov_b32_e32 v10, v8
	v_mov_b32_e32 v55, v33
	v_mov_b32_e32 v13, v33
	v_mov_b32_e32 v38, v8
	v_mov_b32_e32 v39, v26
	v_mov_b32_e32 v58, v60
	v_pk_mul_f32 v[64:65], v[74:75], v[64:65]
	v_pk_add_f32 v[16:17], v[16:17], v[14:15] neg_lo:[0,1] neg_hi:[0,1]
	v_pk_add_f32 v[34:35], v[34:35], v[4:5] neg_lo:[0,1] neg_hi:[0,1]
	;; [unrolled: 1-line block ×4, first 2 shown]
	v_mul_f32_e32 v89, v19, v62
	v_pk_fma_f32 v[60:61], v[52:53], v[60:61], v[64:65]
	v_pk_fma_f32 v[52:53], v[52:53], v[58:59], v[64:65] neg_lo:[0,0,1] neg_hi:[0,0,1]
	v_mov_b32_e32 v58, v23
	v_mov_b32_e32 v65, v62
	;; [unrolled: 1-line block ×4, first 2 shown]
	v_pk_mul_f32 v[30:31], v[16:17], s[2:3]
	v_pk_mul_f32 v[34:35], v[34:35], s[16:17]
	v_pk_add_f32 v[36:37], v[4:5], v[14:15]
	v_pk_add_f32 v[8:9], v[32:33], v[8:9]
	v_pk_mul_f32 v[10:11], v[10:11], s[10:11]
	v_pk_mul_f32 v[40:41], v[38:39], s[6:7]
	v_mov_b32_e32 v5, v15
	v_mov_b32_e32 v55, v26
	;; [unrolled: 1-line block ×5, first 2 shown]
	v_pk_mul_f32 v[18:19], v[22:23], v[62:63]
	v_pk_add_f32 v[36:37], v[36:37], v[6:7]
	v_pk_add_f32 v[32:33], v[8:9], v[98:99]
	v_pk_fma_f32 v[38:39], v[38:39], s[6:7], v[10:11]
	v_pk_fma_f32 v[16:17], v[16:17], s[2:3], v[34:35]
	v_pk_add_f32 v[4:5], v[4:5], v[6:7] neg_lo:[0,1] neg_hi:[0,1]
	v_pk_add_f32 v[6:7], v[54:55], v[12:13] neg_lo:[0,1] neg_hi:[0,1]
	v_mov_b32_e32 v12, v40
	v_mov_b32_e32 v13, v11
	;; [unrolled: 1-line block ×6, first 2 shown]
	v_pk_fma_f32 v[62:63], v[58:59], v[66:67], v[18:19]
	v_pk_fma_f32 v[58:59], v[58:59], v[64:65], v[18:19] neg_lo:[0,0,1] neg_hi:[0,0,1]
	v_pk_mul_f32 v[18:19], v[28:29], v[68:69] op_sel_hi:[1,0]
	v_mov_b32_e32 v22, v69
	v_mov_b32_e32 v24, v69
	v_pk_fma_f32 v[8:9], v[8:9], s[4:5], v[32:33] op_sel_hi:[1,0,1] neg_lo:[1,0,0] neg_hi:[1,0,0]
	v_pk_fma_f32 v[12:13], v[6:7], s[14:15], v[12:13] op_sel_hi:[1,0,1] neg_lo:[1,0,1] neg_hi:[1,0,1]
	;; [unrolled: 1-line block ×5, first 2 shown]
	v_pk_fma_f32 v[64:65], v[28:29], v[22:23], v[18:19] op_sel:[0,0,1] op_sel_hi:[1,1,0]
	v_pk_fma_f32 v[18:19], v[28:29], v[24:25], v[18:19] op_sel:[0,0,1] op_sel_hi:[1,0,0] neg_lo:[1,0,0] neg_hi:[1,0,0]
	v_pk_add_f32 v[12:13], v[12:13], v[8:9]
	v_pk_fma_f32 v[14:15], v[36:37], s[0:1], v[14:15] op_sel_hi:[1,0,1]
	v_pk_add_f32 v[6:7], v[6:7], v[8:9]
	v_pk_fma_f32 v[4:5], v[36:37], s[0:1], v[4:5] op_sel_hi:[1,0,1]
	v_mov_b32_e32 v111, v25
	v_mov_b32_e32 v61, v53
	;; [unrolled: 1-line block ×6, first 2 shown]
	v_pk_add_f32 v[38:39], v[38:39], v[8:9]
	v_pk_add_f32 v[20:21], v[12:13], v[14:15]
	v_pk_add_f32 v[12:13], v[12:13], v[14:15] neg_lo:[0,1] neg_hi:[0,1]
	v_pk_add_f32 v[8:9], v[6:7], v[4:5] neg_lo:[0,1] neg_hi:[0,1]
	v_pk_add_f32 v[4:5], v[6:7], v[4:5]
	v_pk_add_f32 v[2:3], v[88:89], v[94:95]
	;; [unrolled: 1-line block ×4, first 2 shown]
	v_pk_add_f32 v[60:61], v[60:61], v[62:63] neg_lo:[0,1] neg_hi:[0,1]
	v_pk_add_f32 v[62:63], v[90:91], v[92:93]
	v_mov_b32_e32 v57, v73
	v_mov_b32_e32 v109, v107
	;; [unrolled: 1-line block ×10, first 2 shown]
	ds_write_b64 v134, v[82:83]
	ds_write_b64 v134, v[56:57] offset:1560
	ds_write_b64 v134, v[108:109] offset:1872
	ds_write2_b64 v46, v[14:15], v[6:7] offset0:78 offset1:117
	v_mov_b32_e32 v5, v9
	v_mov_b32_e32 v13, v21
	;; [unrolled: 1-line block ×6, first 2 shown]
	v_pk_add_f32 v[64:65], v[110:111], v[64:65] neg_lo:[0,1] neg_hi:[0,1]
	v_pk_add_f32 v[68:69], v[18:19], v[24:25] neg_lo:[0,1] neg_hi:[0,1]
	ds_write2_b64 v46, v[4:5], v[12:13] offset0:156 offset1:195
	v_pk_add_f32 v[4:5], v[2:3], v[62:63]
	v_pk_add_f32 v[6:7], v[6:7], v[8:9]
	v_mov_b32_e32 v24, v68
	v_mov_b32_e32 v25, v65
	;; [unrolled: 1-line block ×6, first 2 shown]
	v_pk_add_f32 v[24:25], v[24:25], v[60:61] neg_lo:[0,1] neg_hi:[0,1]
	v_pk_add_f32 v[8:9], v[8:9], v[2:3] neg_lo:[0,1] neg_hi:[0,1]
	v_mov_b32_e32 v63, v5
	v_mov_b32_e32 v10, v6
	;; [unrolled: 1-line block ×3, first 2 shown]
	v_pk_add_f32 v[4:5], v[4:5], v[6:7]
	v_pk_add_f32 v[74:75], v[18:19], v[68:69] neg_lo:[0,1] neg_hi:[0,1]
	v_pk_mul_f32 v[28:29], v[24:25], s[16:17]
	v_pk_add_f32 v[24:25], v[60:61], v[68:69]
	v_pk_add_f32 v[10:11], v[62:63], v[10:11] neg_lo:[0,1] neg_hi:[0,1]
	v_pk_add_f32 v[0:1], v[4:5], v[0:1]
	v_pk_mul_f32 v[6:7], v[8:9], s[10:11]
	v_pk_add_f32 v[24:25], v[24:25], v[64:65]
	v_pk_fma_f32 v[16:17], v[36:37], s[0:1], v[16:17] op_sel_hi:[1,0,1]
	v_pk_mul_f32 v[8:9], v[10:11], s[6:7]
	v_pk_fma_f32 v[4:5], v[4:5], s[4:5], v[0:1] op_sel_hi:[1,0,1] neg_lo:[1,0,0] neg_hi:[1,0,0]
	v_pk_fma_f32 v[10:11], v[10:11], s[6:7], v[6:7]
	v_pk_fma_f32 v[12:13], v[74:75], s[2:3], v[28:29]
	v_pk_add_f32 v[42:43], v[38:39], v[16:17]
	v_pk_add_f32 v[16:17], v[38:39], v[16:17] neg_lo:[0,1] neg_hi:[0,1]
	v_pk_add_f32 v[10:11], v[10:11], v[4:5]
	v_pk_fma_f32 v[12:13], v[24:25], s[0:1], v[12:13] op_sel_hi:[1,0,1]
	v_mov_b32_e32 v38, v42
	v_mov_b32_e32 v39, v17
	;; [unrolled: 1-line block ×3, first 2 shown]
	v_pk_add_f32 v[14:15], v[10:11], v[12:13]
	v_pk_add_f32 v[10:11], v[10:11], v[12:13] neg_lo:[0,1] neg_hi:[0,1]
	v_pk_mul_f32 v[18:19], v[74:75], s[2:3]
	ds_write2_b64 v46, v[32:33], v[38:39] offset1:39
	ds_write_b64 v46, v[16:17] offset:1872
	ds_write_b64 v134, v[0:1] offset:208
	v_mov_b32_e32 v0, v14
	v_mov_b32_e32 v1, v11
	;; [unrolled: 1-line block ×5, first 2 shown]
	ds_write_b64 v134, v[0:1] offset:520
	v_pk_add_f32 v[0:1], v[60:61], v[64:65] neg_lo:[0,1] neg_hi:[0,1]
	v_pk_add_f32 v[2:3], v[2:3], v[62:63] neg_lo:[0,1] neg_hi:[0,1]
	v_mov_b32_e32 v12, v8
	v_mov_b32_e32 v13, v7
	;; [unrolled: 1-line block ×6, first 2 shown]
	v_pk_fma_f32 v[12:13], v[2:3], s[14:15], v[12:13] op_sel_hi:[1,0,1] neg_lo:[1,0,1] neg_hi:[1,0,1]
	v_pk_fma_f32 v[16:17], v[0:1], s[12:13], v[16:17] op_sel_hi:[1,0,1] neg_lo:[1,0,1] neg_hi:[1,0,1]
	v_pk_fma_f32 v[2:3], v[2:3], s[14:15], v[6:7] op_sel_hi:[1,0,1] neg_lo:[0,0,1] neg_hi:[0,0,1]
	v_pk_fma_f32 v[0:1], v[0:1], s[12:13], v[28:29] op_sel_hi:[1,0,1] neg_lo:[0,0,1] neg_hi:[0,0,1]
	v_pk_add_f32 v[12:13], v[12:13], v[4:5]
	v_pk_fma_f32 v[16:17], v[24:25], s[0:1], v[16:17] op_sel_hi:[1,0,1]
	v_pk_add_f32 v[2:3], v[2:3], v[4:5]
	v_pk_fma_f32 v[0:1], v[24:25], s[0:1], v[0:1] op_sel_hi:[1,0,1]
	v_pk_add_f32 v[20:21], v[12:13], v[16:17]
	v_pk_add_f32 v[12:13], v[12:13], v[16:17] neg_lo:[0,1] neg_hi:[0,1]
	v_pk_add_f32 v[4:5], v[2:3], v[0:1] neg_lo:[0,1] neg_hi:[0,1]
	v_pk_add_f32 v[0:1], v[2:3], v[0:1]
	v_mov_b32_e32 v16, v20
	v_mov_b32_e32 v17, v13
	;; [unrolled: 1-line block ×7, first 2 shown]
	ds_write_b64 v134, v[16:17] offset:832
	ds_write_b64 v134, v[2:3] offset:1144
	;; [unrolled: 1-line block ×5, first 2 shown]
	s_waitcnt lgkmcnt(0)
	; wave barrier
	s_waitcnt lgkmcnt(0)
	s_and_saveexec_b64 s[0:1], vcc
	s_cbranch_execz .LBB0_17
; %bb.16:
	v_mad_u64_u32 v[4:5], s[0:1], s8, v128, 0
	ds_read2_b64 v[0:3], v133 offset1:13
	v_mov_b32_e32 v6, v5
	v_mad_u64_u32 v[6:7], s[0:1], s9, v128, v[6:7]
	v_mov_b32_e32 v5, v6
	v_lshl_add_u64 v[4:5], v[4:5], 3, v[48:49]
	s_waitcnt lgkmcnt(0)
	global_store_dwordx2 v[4:5], v[0:1], off
	v_mad_u64_u32 v[0:1], s[0:1], s8, v130, 0
	v_mov_b32_e32 v4, v1
	v_mad_u64_u32 v[4:5], s[0:1], s9, v130, v[4:5]
	v_mov_b32_e32 v1, v4
	v_lshl_add_u64 v[0:1], v[0:1], 3, v[48:49]
	global_store_dwordx2 v[0:1], v[2:3], off
	v_mad_u64_u32 v[4:5], s[0:1], s8, v132, 0
	ds_read2_b64 v[0:3], v133 offset0:26 offset1:39
	v_mov_b32_e32 v6, v5
	v_mad_u64_u32 v[6:7], s[0:1], s9, v132, v[6:7]
	v_mov_b32_e32 v5, v6
	v_lshl_add_u64 v[4:5], v[4:5], 3, v[48:49]
	s_waitcnt lgkmcnt(0)
	global_store_dwordx2 v[4:5], v[0:1], off
	v_mad_u64_u32 v[0:1], s[0:1], s8, v131, 0
	v_mov_b32_e32 v4, v1
	v_mad_u64_u32 v[4:5], s[0:1], s9, v131, v[4:5]
	v_mov_b32_e32 v1, v4
	v_lshl_add_u64 v[0:1], v[0:1], 3, v[48:49]
	global_store_dwordx2 v[0:1], v[2:3], off
	v_mad_u64_u32 v[4:5], s[0:1], s8, v129, 0
	ds_read2_b64 v[0:3], v133 offset0:52 offset1:65
	;; [unrolled: 14-line block ×3, first 2 shown]
	v_mov_b32_e32 v6, v5
	v_mad_u64_u32 v[6:7], s[0:1], s9, v44, v[6:7]
	v_mov_b32_e32 v5, v6
	v_lshl_add_u64 v[4:5], v[4:5], 3, v[48:49]
	s_waitcnt lgkmcnt(0)
	global_store_dwordx2 v[4:5], v[0:1], off
	v_add_u32_e32 v5, 0x5b, v128
	v_mad_u64_u32 v[0:1], s[0:1], s8, v5, 0
	v_mov_b32_e32 v4, v1
	v_mad_u64_u32 v[4:5], s[0:1], s9, v5, v[4:5]
	v_mov_b32_e32 v1, v4
	v_lshl_add_u64 v[0:1], v[0:1], 3, v[48:49]
	v_add_u32_e32 v7, 0x68, v128
	global_store_dwordx2 v[0:1], v[2:3], off
	v_mad_u64_u32 v[4:5], s[0:1], s8, v7, 0
	ds_read2_b64 v[0:3], v133 offset0:104 offset1:117
	v_mov_b32_e32 v6, v5
	v_mad_u64_u32 v[6:7], s[0:1], s9, v7, v[6:7]
	v_mov_b32_e32 v5, v6
	v_lshl_add_u64 v[4:5], v[4:5], 3, v[48:49]
	s_waitcnt lgkmcnt(0)
	global_store_dwordx2 v[4:5], v[0:1], off
	v_add_u32_e32 v5, 0x75, v128
	v_mad_u64_u32 v[0:1], s[0:1], s8, v5, 0
	v_mov_b32_e32 v4, v1
	v_mad_u64_u32 v[4:5], s[0:1], s9, v5, v[4:5]
	v_mov_b32_e32 v1, v4
	v_lshl_add_u64 v[0:1], v[0:1], 3, v[48:49]
	v_add_u32_e32 v7, 0x82, v128
	global_store_dwordx2 v[0:1], v[2:3], off
	v_mad_u64_u32 v[4:5], s[0:1], s8, v7, 0
	ds_read2_b64 v[0:3], v133 offset0:130 offset1:143
	;; [unrolled: 16-line block ×4, first 2 shown]
	v_mov_b32_e32 v6, v5
	v_mad_u64_u32 v[6:7], s[0:1], s9, v7, v[6:7]
	v_mov_b32_e32 v5, v6
	v_lshl_add_u64 v[4:5], v[4:5], 3, v[48:49]
	s_waitcnt lgkmcnt(0)
	global_store_dwordx2 v[4:5], v[0:1], off
	v_add_u32_e32 v5, 0xc3, v128
	v_mad_u64_u32 v[0:1], s[0:1], s8, v5, 0
	v_mov_b32_e32 v4, v1
	v_mad_u64_u32 v[4:5], s[0:1], s9, v5, v[4:5]
	v_mov_b32_e32 v1, v4
	v_lshl_add_u64 v[0:1], v[0:1], 3, v[48:49]
	v_or_b32_e32 v7, 0xd0, v128
	global_store_dwordx2 v[0:1], v[2:3], off
	v_mad_u64_u32 v[4:5], s[0:1], s8, v7, 0
	ds_read2_b64 v[0:3], v133 offset0:208 offset1:221
	v_mov_b32_e32 v6, v5
	v_mad_u64_u32 v[6:7], s[0:1], s9, v7, v[6:7]
	v_mov_b32_e32 v5, v6
	v_lshl_add_u64 v[4:5], v[4:5], 3, v[48:49]
	s_waitcnt lgkmcnt(0)
	global_store_dwordx2 v[4:5], v[0:1], off
	v_add_u32_e32 v5, 0xdd, v128
	v_mad_u64_u32 v[0:1], s[0:1], s8, v5, 0
	v_mov_b32_e32 v4, v1
	v_mad_u64_u32 v[4:5], s[0:1], s9, v5, v[4:5]
	v_mov_b32_e32 v1, v4
	v_lshl_add_u64 v[0:1], v[0:1], 3, v[48:49]
	v_add_u32_e32 v7, 0xea, v128
	global_store_dwordx2 v[0:1], v[2:3], off
	v_mad_u64_u32 v[4:5], s[0:1], s8, v7, 0
	ds_read2_b64 v[0:3], v133 offset0:234 offset1:247
	v_mov_b32_e32 v6, v5
	v_mad_u64_u32 v[6:7], s[0:1], s9, v7, v[6:7]
	v_mov_b32_e32 v5, v6
	v_lshl_add_u64 v[4:5], v[4:5], 3, v[48:49]
	s_waitcnt lgkmcnt(0)
	global_store_dwordx2 v[4:5], v[0:1], off
	v_add_u32_e32 v5, 0xf7, v128
	v_mad_u64_u32 v[0:1], s[0:1], s8, v5, 0
	v_mov_b32_e32 v4, v1
	v_mad_u64_u32 v[4:5], s[0:1], s9, v5, v[4:5]
	v_mov_b32_e32 v1, v4
	v_lshl_add_u64 v[0:1], v[0:1], 3, v[48:49]
	global_store_dwordx2 v[0:1], v[2:3], off
	v_add_u32_e32 v3, 0x104, v128
	v_mad_u64_u32 v[0:1], s[0:1], s8, v3, 0
	ds_read_b64 v[4:5], v133 offset:2080
	v_mov_b32_e32 v2, v1
	v_mad_u64_u32 v[2:3], s[0:1], s9, v3, v[2:3]
	v_mov_b32_e32 v1, v2
	v_lshl_add_u64 v[0:1], v[0:1], 3, v[48:49]
	s_waitcnt lgkmcnt(0)
	global_store_dwordx2 v[0:1], v[4:5], off
.LBB0_17:
	s_endpgm
	.section	.rodata,"a",@progbits
	.p2align	6, 0x0
	.amdhsa_kernel fft_rtc_fwd_len273_factors_13_3_7_wgs_52_tpt_13_sp_ip_CI_sbrr_dirReg
		.amdhsa_group_segment_fixed_size 0
		.amdhsa_private_segment_fixed_size 0
		.amdhsa_kernarg_size 88
		.amdhsa_user_sgpr_count 2
		.amdhsa_user_sgpr_dispatch_ptr 0
		.amdhsa_user_sgpr_queue_ptr 0
		.amdhsa_user_sgpr_kernarg_segment_ptr 1
		.amdhsa_user_sgpr_dispatch_id 0
		.amdhsa_user_sgpr_kernarg_preload_length 0
		.amdhsa_user_sgpr_kernarg_preload_offset 0
		.amdhsa_user_sgpr_private_segment_size 0
		.amdhsa_uses_dynamic_stack 0
		.amdhsa_enable_private_segment 0
		.amdhsa_system_sgpr_workgroup_id_x 1
		.amdhsa_system_sgpr_workgroup_id_y 0
		.amdhsa_system_sgpr_workgroup_id_z 0
		.amdhsa_system_sgpr_workgroup_info 0
		.amdhsa_system_vgpr_workitem_id 0
		.amdhsa_next_free_vgpr 200
		.amdhsa_next_free_sgpr 58
		.amdhsa_accum_offset 200
		.amdhsa_reserve_vcc 1
		.amdhsa_float_round_mode_32 0
		.amdhsa_float_round_mode_16_64 0
		.amdhsa_float_denorm_mode_32 3
		.amdhsa_float_denorm_mode_16_64 3
		.amdhsa_dx10_clamp 1
		.amdhsa_ieee_mode 1
		.amdhsa_fp16_overflow 0
		.amdhsa_tg_split 0
		.amdhsa_exception_fp_ieee_invalid_op 0
		.amdhsa_exception_fp_denorm_src 0
		.amdhsa_exception_fp_ieee_div_zero 0
		.amdhsa_exception_fp_ieee_overflow 0
		.amdhsa_exception_fp_ieee_underflow 0
		.amdhsa_exception_fp_ieee_inexact 0
		.amdhsa_exception_int_div_zero 0
	.end_amdhsa_kernel
	.text
.Lfunc_end0:
	.size	fft_rtc_fwd_len273_factors_13_3_7_wgs_52_tpt_13_sp_ip_CI_sbrr_dirReg, .Lfunc_end0-fft_rtc_fwd_len273_factors_13_3_7_wgs_52_tpt_13_sp_ip_CI_sbrr_dirReg
                                        ; -- End function
	.section	.AMDGPU.csdata,"",@progbits
; Kernel info:
; codeLenInByte = 12780
; NumSgprs: 64
; NumVgprs: 200
; NumAgprs: 0
; TotalNumVgprs: 200
; ScratchSize: 0
; MemoryBound: 0
; FloatMode: 240
; IeeeMode: 1
; LDSByteSize: 0 bytes/workgroup (compile time only)
; SGPRBlocks: 7
; VGPRBlocks: 24
; NumSGPRsForWavesPerEU: 64
; NumVGPRsForWavesPerEU: 200
; AccumOffset: 200
; Occupancy: 2
; WaveLimiterHint : 1
; COMPUTE_PGM_RSRC2:SCRATCH_EN: 0
; COMPUTE_PGM_RSRC2:USER_SGPR: 2
; COMPUTE_PGM_RSRC2:TRAP_HANDLER: 0
; COMPUTE_PGM_RSRC2:TGID_X_EN: 1
; COMPUTE_PGM_RSRC2:TGID_Y_EN: 0
; COMPUTE_PGM_RSRC2:TGID_Z_EN: 0
; COMPUTE_PGM_RSRC2:TIDIG_COMP_CNT: 0
; COMPUTE_PGM_RSRC3_GFX90A:ACCUM_OFFSET: 49
; COMPUTE_PGM_RSRC3_GFX90A:TG_SPLIT: 0
	.text
	.p2alignl 6, 3212836864
	.fill 256, 4, 3212836864
	.type	__hip_cuid_c277fa9080ee949,@object ; @__hip_cuid_c277fa9080ee949
	.section	.bss,"aw",@nobits
	.globl	__hip_cuid_c277fa9080ee949
__hip_cuid_c277fa9080ee949:
	.byte	0                               ; 0x0
	.size	__hip_cuid_c277fa9080ee949, 1

	.ident	"AMD clang version 19.0.0git (https://github.com/RadeonOpenCompute/llvm-project roc-6.4.0 25133 c7fe45cf4b819c5991fe208aaa96edf142730f1d)"
	.section	".note.GNU-stack","",@progbits
	.addrsig
	.addrsig_sym __hip_cuid_c277fa9080ee949
	.amdgpu_metadata
---
amdhsa.kernels:
  - .agpr_count:     0
    .args:
      - .actual_access:  read_only
        .address_space:  global
        .offset:         0
        .size:           8
        .value_kind:     global_buffer
      - .offset:         8
        .size:           8
        .value_kind:     by_value
      - .actual_access:  read_only
        .address_space:  global
        .offset:         16
        .size:           8
        .value_kind:     global_buffer
      - .actual_access:  read_only
        .address_space:  global
        .offset:         24
        .size:           8
        .value_kind:     global_buffer
      - .offset:         32
        .size:           8
        .value_kind:     by_value
      - .actual_access:  read_only
        .address_space:  global
        .offset:         40
        .size:           8
        .value_kind:     global_buffer
      - .actual_access:  read_only
        .address_space:  global
        .offset:         48
        .size:           8
        .value_kind:     global_buffer
      - .offset:         56
        .size:           4
        .value_kind:     by_value
      - .actual_access:  read_only
        .address_space:  global
        .offset:         64
        .size:           8
        .value_kind:     global_buffer
      - .actual_access:  read_only
        .address_space:  global
        .offset:         72
        .size:           8
        .value_kind:     global_buffer
      - .address_space:  global
        .offset:         80
        .size:           8
        .value_kind:     global_buffer
    .group_segment_fixed_size: 0
    .kernarg_segment_align: 8
    .kernarg_segment_size: 88
    .language:       OpenCL C
    .language_version:
      - 2
      - 0
    .max_flat_workgroup_size: 52
    .name:           fft_rtc_fwd_len273_factors_13_3_7_wgs_52_tpt_13_sp_ip_CI_sbrr_dirReg
    .private_segment_fixed_size: 0
    .sgpr_count:     64
    .sgpr_spill_count: 0
    .symbol:         fft_rtc_fwd_len273_factors_13_3_7_wgs_52_tpt_13_sp_ip_CI_sbrr_dirReg.kd
    .uniform_work_group_size: 1
    .uses_dynamic_stack: false
    .vgpr_count:     200
    .vgpr_spill_count: 0
    .wavefront_size: 64
amdhsa.target:   amdgcn-amd-amdhsa--gfx950
amdhsa.version:
  - 1
  - 2
...

	.end_amdgpu_metadata
